;; amdgpu-corpus repo=ROCm/rocFFT kind=compiled arch=gfx906 opt=O3
	.text
	.amdgcn_target "amdgcn-amd-amdhsa--gfx906"
	.amdhsa_code_object_version 6
	.protected	fft_rtc_fwd_len2430_factors_10_3_3_3_3_3_wgs_81_tpt_81_halfLds_sp_ip_CI_unitstride_sbrr_dirReg ; -- Begin function fft_rtc_fwd_len2430_factors_10_3_3_3_3_3_wgs_81_tpt_81_halfLds_sp_ip_CI_unitstride_sbrr_dirReg
	.globl	fft_rtc_fwd_len2430_factors_10_3_3_3_3_3_wgs_81_tpt_81_halfLds_sp_ip_CI_unitstride_sbrr_dirReg
	.p2align	8
	.type	fft_rtc_fwd_len2430_factors_10_3_3_3_3_3_wgs_81_tpt_81_halfLds_sp_ip_CI_unitstride_sbrr_dirReg,@function
fft_rtc_fwd_len2430_factors_10_3_3_3_3_3_wgs_81_tpt_81_halfLds_sp_ip_CI_unitstride_sbrr_dirReg: ; @fft_rtc_fwd_len2430_factors_10_3_3_3_3_3_wgs_81_tpt_81_halfLds_sp_ip_CI_unitstride_sbrr_dirReg
; %bb.0:
	s_load_dwordx2 s[2:3], s[4:5], 0x50
	s_load_dwordx4 s[8:11], s[4:5], 0x0
	s_load_dwordx2 s[12:13], s[4:5], 0x18
	v_mul_u32_u24_e32 v1, 0x32a, v0
	v_add_u32_sdwa v5, s6, v1 dst_sel:DWORD dst_unused:UNUSED_PAD src0_sel:DWORD src1_sel:WORD_1
	v_mov_b32_e32 v3, 0
	s_waitcnt lgkmcnt(0)
	v_cmp_lt_u64_e64 s[0:1], s[10:11], 2
	v_mov_b32_e32 v1, 0
	v_mov_b32_e32 v6, v3
	s_and_b64 vcc, exec, s[0:1]
	v_mov_b32_e32 v2, 0
	s_cbranch_vccnz .LBB0_8
; %bb.1:
	s_load_dwordx2 s[0:1], s[4:5], 0x10
	s_add_u32 s6, s12, 8
	s_addc_u32 s7, s13, 0
	v_mov_b32_e32 v1, 0
	v_mov_b32_e32 v2, 0
	s_waitcnt lgkmcnt(0)
	s_add_u32 s14, s0, 8
	s_addc_u32 s15, s1, 0
	s_mov_b64 s[16:17], 1
.LBB0_2:                                ; =>This Inner Loop Header: Depth=1
	s_load_dwordx2 s[18:19], s[14:15], 0x0
                                        ; implicit-def: $vgpr7_vgpr8
	s_waitcnt lgkmcnt(0)
	v_or_b32_e32 v4, s19, v6
	v_cmp_ne_u64_e32 vcc, 0, v[3:4]
	s_and_saveexec_b64 s[0:1], vcc
	s_xor_b64 s[20:21], exec, s[0:1]
	s_cbranch_execz .LBB0_4
; %bb.3:                                ;   in Loop: Header=BB0_2 Depth=1
	v_cvt_f32_u32_e32 v4, s18
	v_cvt_f32_u32_e32 v7, s19
	s_sub_u32 s0, 0, s18
	s_subb_u32 s1, 0, s19
	v_mac_f32_e32 v4, 0x4f800000, v7
	v_rcp_f32_e32 v4, v4
	v_mul_f32_e32 v4, 0x5f7ffffc, v4
	v_mul_f32_e32 v7, 0x2f800000, v4
	v_trunc_f32_e32 v7, v7
	v_mac_f32_e32 v4, 0xcf800000, v7
	v_cvt_u32_f32_e32 v7, v7
	v_cvt_u32_f32_e32 v4, v4
	v_mul_lo_u32 v8, s0, v7
	v_mul_hi_u32 v9, s0, v4
	v_mul_lo_u32 v11, s1, v4
	v_mul_lo_u32 v10, s0, v4
	v_add_u32_e32 v8, v9, v8
	v_add_u32_e32 v8, v8, v11
	v_mul_hi_u32 v9, v4, v10
	v_mul_lo_u32 v11, v4, v8
	v_mul_hi_u32 v13, v4, v8
	v_mul_hi_u32 v12, v7, v10
	v_mul_lo_u32 v10, v7, v10
	v_mul_hi_u32 v14, v7, v8
	v_add_co_u32_e32 v9, vcc, v9, v11
	v_addc_co_u32_e32 v11, vcc, 0, v13, vcc
	v_mul_lo_u32 v8, v7, v8
	v_add_co_u32_e32 v9, vcc, v9, v10
	v_addc_co_u32_e32 v9, vcc, v11, v12, vcc
	v_addc_co_u32_e32 v10, vcc, 0, v14, vcc
	v_add_co_u32_e32 v8, vcc, v9, v8
	v_addc_co_u32_e32 v9, vcc, 0, v10, vcc
	v_add_co_u32_e32 v4, vcc, v4, v8
	v_addc_co_u32_e32 v7, vcc, v7, v9, vcc
	v_mul_lo_u32 v8, s0, v7
	v_mul_hi_u32 v9, s0, v4
	v_mul_lo_u32 v10, s1, v4
	v_mul_lo_u32 v11, s0, v4
	v_add_u32_e32 v8, v9, v8
	v_add_u32_e32 v8, v8, v10
	v_mul_lo_u32 v12, v4, v8
	v_mul_hi_u32 v13, v4, v11
	v_mul_hi_u32 v14, v4, v8
	;; [unrolled: 1-line block ×3, first 2 shown]
	v_mul_lo_u32 v11, v7, v11
	v_mul_hi_u32 v9, v7, v8
	v_add_co_u32_e32 v12, vcc, v13, v12
	v_addc_co_u32_e32 v13, vcc, 0, v14, vcc
	v_mul_lo_u32 v8, v7, v8
	v_add_co_u32_e32 v11, vcc, v12, v11
	v_addc_co_u32_e32 v10, vcc, v13, v10, vcc
	v_addc_co_u32_e32 v9, vcc, 0, v9, vcc
	v_add_co_u32_e32 v8, vcc, v10, v8
	v_addc_co_u32_e32 v9, vcc, 0, v9, vcc
	v_add_co_u32_e32 v4, vcc, v4, v8
	v_addc_co_u32_e32 v9, vcc, v7, v9, vcc
	v_mad_u64_u32 v[7:8], s[0:1], v5, v9, 0
	v_mul_hi_u32 v10, v5, v4
	v_add_co_u32_e32 v11, vcc, v10, v7
	v_addc_co_u32_e32 v12, vcc, 0, v8, vcc
	v_mad_u64_u32 v[7:8], s[0:1], v6, v4, 0
	v_mad_u64_u32 v[9:10], s[0:1], v6, v9, 0
	v_add_co_u32_e32 v4, vcc, v11, v7
	v_addc_co_u32_e32 v4, vcc, v12, v8, vcc
	v_addc_co_u32_e32 v7, vcc, 0, v10, vcc
	v_add_co_u32_e32 v4, vcc, v4, v9
	v_addc_co_u32_e32 v9, vcc, 0, v7, vcc
	v_mul_lo_u32 v10, s19, v4
	v_mul_lo_u32 v11, s18, v9
	v_mad_u64_u32 v[7:8], s[0:1], s18, v4, 0
	v_add3_u32 v8, v8, v11, v10
	v_sub_u32_e32 v10, v6, v8
	v_mov_b32_e32 v11, s19
	v_sub_co_u32_e32 v7, vcc, v5, v7
	v_subb_co_u32_e64 v10, s[0:1], v10, v11, vcc
	v_subrev_co_u32_e64 v11, s[0:1], s18, v7
	v_subbrev_co_u32_e64 v10, s[0:1], 0, v10, s[0:1]
	v_cmp_le_u32_e64 s[0:1], s19, v10
	v_cndmask_b32_e64 v12, 0, -1, s[0:1]
	v_cmp_le_u32_e64 s[0:1], s18, v11
	v_cndmask_b32_e64 v11, 0, -1, s[0:1]
	v_cmp_eq_u32_e64 s[0:1], s19, v10
	v_cndmask_b32_e64 v10, v12, v11, s[0:1]
	v_add_co_u32_e64 v11, s[0:1], 2, v4
	v_addc_co_u32_e64 v12, s[0:1], 0, v9, s[0:1]
	v_add_co_u32_e64 v13, s[0:1], 1, v4
	v_addc_co_u32_e64 v14, s[0:1], 0, v9, s[0:1]
	v_subb_co_u32_e32 v8, vcc, v6, v8, vcc
	v_cmp_ne_u32_e64 s[0:1], 0, v10
	v_cmp_le_u32_e32 vcc, s19, v8
	v_cndmask_b32_e64 v10, v14, v12, s[0:1]
	v_cndmask_b32_e64 v12, 0, -1, vcc
	v_cmp_le_u32_e32 vcc, s18, v7
	v_cndmask_b32_e64 v7, 0, -1, vcc
	v_cmp_eq_u32_e32 vcc, s19, v8
	v_cndmask_b32_e32 v7, v12, v7, vcc
	v_cmp_ne_u32_e32 vcc, 0, v7
	v_cndmask_b32_e64 v7, v13, v11, s[0:1]
	v_cndmask_b32_e32 v8, v9, v10, vcc
	v_cndmask_b32_e32 v7, v4, v7, vcc
.LBB0_4:                                ;   in Loop: Header=BB0_2 Depth=1
	s_andn2_saveexec_b64 s[0:1], s[20:21]
	s_cbranch_execz .LBB0_6
; %bb.5:                                ;   in Loop: Header=BB0_2 Depth=1
	v_cvt_f32_u32_e32 v4, s18
	s_sub_i32 s20, 0, s18
	v_rcp_iflag_f32_e32 v4, v4
	v_mul_f32_e32 v4, 0x4f7ffffe, v4
	v_cvt_u32_f32_e32 v4, v4
	v_mul_lo_u32 v7, s20, v4
	v_mul_hi_u32 v7, v4, v7
	v_add_u32_e32 v4, v4, v7
	v_mul_hi_u32 v4, v5, v4
	v_mul_lo_u32 v7, v4, s18
	v_add_u32_e32 v8, 1, v4
	v_sub_u32_e32 v7, v5, v7
	v_subrev_u32_e32 v9, s18, v7
	v_cmp_le_u32_e32 vcc, s18, v7
	v_cndmask_b32_e32 v7, v7, v9, vcc
	v_cndmask_b32_e32 v4, v4, v8, vcc
	v_add_u32_e32 v8, 1, v4
	v_cmp_le_u32_e32 vcc, s18, v7
	v_cndmask_b32_e32 v7, v4, v8, vcc
	v_mov_b32_e32 v8, v3
.LBB0_6:                                ;   in Loop: Header=BB0_2 Depth=1
	s_or_b64 exec, exec, s[0:1]
	v_mul_lo_u32 v4, v8, s18
	v_mul_lo_u32 v11, v7, s19
	v_mad_u64_u32 v[9:10], s[0:1], v7, s18, 0
	s_load_dwordx2 s[0:1], s[6:7], 0x0
	s_add_u32 s16, s16, 1
	v_add3_u32 v4, v10, v11, v4
	v_sub_co_u32_e32 v5, vcc, v5, v9
	v_subb_co_u32_e32 v4, vcc, v6, v4, vcc
	s_waitcnt lgkmcnt(0)
	v_mul_lo_u32 v4, s0, v4
	v_mul_lo_u32 v6, s1, v5
	v_mad_u64_u32 v[1:2], s[0:1], s0, v5, v[1:2]
	s_addc_u32 s17, s17, 0
	s_add_u32 s6, s6, 8
	v_add3_u32 v2, v6, v2, v4
	v_mov_b32_e32 v4, s10
	v_mov_b32_e32 v5, s11
	s_addc_u32 s7, s7, 0
	v_cmp_ge_u64_e32 vcc, s[16:17], v[4:5]
	s_add_u32 s14, s14, 8
	s_addc_u32 s15, s15, 0
	s_cbranch_vccnz .LBB0_9
; %bb.7:                                ;   in Loop: Header=BB0_2 Depth=1
	v_mov_b32_e32 v5, v7
	v_mov_b32_e32 v6, v8
	s_branch .LBB0_2
.LBB0_8:
	v_mov_b32_e32 v8, v6
	v_mov_b32_e32 v7, v5
.LBB0_9:
	s_lshl_b64 s[0:1], s[10:11], 3
	s_add_u32 s0, s12, s0
	s_addc_u32 s1, s13, s1
	s_load_dwordx2 s[6:7], s[0:1], 0x0
	s_load_dwordx2 s[10:11], s[4:5], 0x20
                                        ; implicit-def: $vgpr19
                                        ; implicit-def: $vgpr21
                                        ; implicit-def: $vgpr17
                                        ; implicit-def: $vgpr23
                                        ; implicit-def: $vgpr13
                                        ; implicit-def: $vgpr15
                                        ; implicit-def: $vgpr59
                                        ; implicit-def: $vgpr11
                                        ; implicit-def: $vgpr41
                                        ; implicit-def: $vgpr37
                                        ; implicit-def: $vgpr39
                                        ; implicit-def: $vgpr35
                                        ; implicit-def: $vgpr31
                                        ; implicit-def: $vgpr33
                                        ; implicit-def: $vgpr61
                                        ; implicit-def: $vgpr29
                                        ; implicit-def: $vgpr25
                                        ; implicit-def: $vgpr9
                                        ; implicit-def: $vgpr55
                                        ; implicit-def: $vgpr51
                                        ; implicit-def: $vgpr57
                                        ; implicit-def: $vgpr53
                                        ; implicit-def: $vgpr47
                                        ; implicit-def: $vgpr49
                                        ; implicit-def: $vgpr63
                                        ; implicit-def: $vgpr45
                                        ; implicit-def: $vgpr43
                                        ; implicit-def: $vgpr27
	s_waitcnt lgkmcnt(0)
	v_mad_u64_u32 v[1:2], s[0:1], s6, v7, v[1:2]
	v_mul_lo_u32 v3, s6, v8
	v_mul_lo_u32 v4, s7, v7
	s_mov_b32 s0, 0x3291620
	v_mul_hi_u32 v5, v0, s0
	v_cmp_gt_u64_e32 vcc, s[10:11], v[7:8]
	v_add3_u32 v2, v4, v2, v3
	v_lshlrev_b64 v[2:3], 3, v[1:2]
	v_mul_u32_u24_e32 v4, 0x51, v5
	v_sub_u32_e32 v0, v0, v4
                                        ; implicit-def: $vgpr7
                                        ; implicit-def: $vgpr5
	s_and_saveexec_b64 s[4:5], vcc
	s_cbranch_execz .LBB0_11
; %bb.10:
	v_mov_b32_e32 v1, 0
	v_mov_b32_e32 v4, s3
	v_add_co_u32_e64 v6, s[0:1], s2, v2
	v_addc_co_u32_e64 v7, s[0:1], v4, v3, s[0:1]
	v_lshlrev_b64 v[4:5], 3, v[0:1]
	v_add_co_u32_e64 v12, s[0:1], v6, v4
	v_addc_co_u32_e64 v13, s[0:1], v7, v5, s[0:1]
	s_movk_i32 s0, 0x1000
	v_add_co_u32_e64 v14, s[0:1], s0, v12
	v_addc_co_u32_e64 v15, s[0:1], 0, v13, s[0:1]
	s_movk_i32 s0, 0x2000
	;; [unrolled: 3-line block ×4, first 2 shown]
	v_add_co_u32_e64 v68, s[0:1], s0, v12
	v_addc_co_u32_e64 v69, s[0:1], 0, v13, s[0:1]
	global_load_dwordx2 v[26:27], v[12:13], off
	global_load_dwordx2 v[8:9], v[12:13], off offset:648
	global_load_dwordx2 v[24:25], v[12:13], off offset:2592
	;; [unrolled: 1-line block ×14, first 2 shown]
                                        ; kill: killed $vgpr12 killed $vgpr13
                                        ; kill: killed $vgpr14 killed $vgpr15
	global_load_dwordx2 v[46:47], v[64:65], off offset:1528
	s_nop 0
	global_load_dwordx2 v[14:15], v[64:65], off offset:880
	global_load_dwordx2 v[34:35], v[66:67], off offset:24
	;; [unrolled: 1-line block ×14, first 2 shown]
.LBB0_11:
	s_or_b64 exec, exec, s[4:5]
	s_waitcnt vmcnt(23)
	v_add_f32_e32 v1, v44, v26
	s_waitcnt vmcnt(17)
	v_add_f32_e32 v1, v48, v1
	;; [unrolled: 2-line block ×4, first 2 shown]
	v_add_f32_e32 v1, v52, v48
	v_fma_f32 v1, -0.5, v1, v26
	v_sub_f32_e32 v64, v45, v51
	v_mov_b32_e32 v73, v1
	v_fmac_f32_e32 v73, 0x3f737871, v64
	v_sub_f32_e32 v65, v49, v53
	v_sub_f32_e32 v66, v44, v48
	;; [unrolled: 1-line block ×3, first 2 shown]
	v_fmac_f32_e32 v1, 0xbf737871, v64
	v_fmac_f32_e32 v73, 0x3f167918, v65
	v_add_f32_e32 v66, v67, v66
	v_fmac_f32_e32 v1, 0xbf167918, v65
	v_fmac_f32_e32 v73, 0x3e9e377a, v66
	;; [unrolled: 1-line block ×3, first 2 shown]
	v_add_f32_e32 v66, v50, v44
	v_fmac_f32_e32 v26, -0.5, v66
	v_mov_b32_e32 v74, v26
	v_fmac_f32_e32 v74, 0xbf737871, v65
	v_fmac_f32_e32 v26, 0x3f737871, v65
	;; [unrolled: 1-line block ×4, first 2 shown]
	v_add_f32_e32 v64, v62, v42
	v_add_f32_e32 v64, v46, v64
	s_waitcnt vmcnt(5)
	v_add_f32_e32 v64, v56, v64
	v_sub_f32_e32 v66, v48, v44
	v_sub_f32_e32 v67, v52, v50
	s_waitcnt vmcnt(3)
	v_add_f32_e32 v72, v54, v64
	v_add_f32_e32 v64, v56, v46
	;; [unrolled: 1-line block ×3, first 2 shown]
	v_fma_f32 v82, -0.5, v64, v42
	v_fmac_f32_e32 v74, 0x3e9e377a, v66
	v_fmac_f32_e32 v26, 0x3e9e377a, v66
	v_sub_f32_e32 v66, v63, v55
	v_mov_b32_e32 v64, v82
	v_fmac_f32_e32 v64, 0x3f737871, v66
	v_sub_f32_e32 v67, v47, v57
	v_sub_f32_e32 v65, v62, v46
	;; [unrolled: 1-line block ×3, first 2 shown]
	v_fmac_f32_e32 v82, 0xbf737871, v66
	v_fmac_f32_e32 v64, 0x3f167918, v67
	v_add_f32_e32 v65, v68, v65
	v_fmac_f32_e32 v82, 0xbf167918, v67
	v_fmac_f32_e32 v64, 0x3e9e377a, v65
	;; [unrolled: 1-line block ×3, first 2 shown]
	v_add_f32_e32 v65, v54, v62
	v_fmac_f32_e32 v42, -0.5, v65
	v_mov_b32_e32 v65, v42
	v_fmac_f32_e32 v65, 0xbf737871, v67
	v_fmac_f32_e32 v42, 0x3f737871, v67
	v_add_f32_e32 v67, v57, v47
	v_fma_f32 v83, -0.5, v67, v43
	v_sub_f32_e32 v68, v46, v62
	v_sub_f32_e32 v69, v56, v54
	;; [unrolled: 1-line block ×3, first 2 shown]
	v_mov_b32_e32 v54, v83
	v_fmac_f32_e32 v54, 0xbf737871, v62
	v_sub_f32_e32 v56, v46, v56
	v_sub_f32_e32 v46, v63, v47
	;; [unrolled: 1-line block ×3, first 2 shown]
	v_fmac_f32_e32 v83, 0x3f737871, v62
	v_fmac_f32_e32 v54, 0xbf167918, v56
	v_add_f32_e32 v46, v67, v46
	v_fmac_f32_e32 v83, 0x3f167918, v56
	v_fmac_f32_e32 v54, 0x3e9e377a, v46
	;; [unrolled: 1-line block ×3, first 2 shown]
	v_add_f32_e32 v46, v55, v63
	v_fmac_f32_e32 v65, 0x3f167918, v66
	v_fmac_f32_e32 v42, 0xbf167918, v66
	v_add_f32_e32 v66, v63, v43
	v_fmac_f32_e32 v43, -0.5, v46
	v_mov_b32_e32 v46, v43
	v_add_f32_e32 v68, v69, v68
	v_fmac_f32_e32 v46, 0x3f737871, v56
	v_sub_f32_e32 v63, v47, v63
	v_sub_f32_e32 v67, v57, v55
	v_fmac_f32_e32 v65, 0x3e9e377a, v68
	v_fmac_f32_e32 v46, 0xbf167918, v62
	v_add_f32_e32 v63, v67, v63
	v_fmac_f32_e32 v43, 0xbf737871, v56
	v_fmac_f32_e32 v42, 0x3e9e377a, v68
	;; [unrolled: 1-line block ×4, first 2 shown]
	v_mul_f32_e32 v75, 0x3e9e377a, v65
	s_mov_b32 s1, 0x3f737871
	v_fmac_f32_e32 v43, 0x3e9e377a, v63
	v_mul_f32_e32 v63, 0x3f4f1bbd, v64
	v_fmac_f32_e32 v75, 0x3f737871, v46
	v_mul_f32_e32 v56, 0x3e9e377a, v42
	v_fmac_f32_e32 v63, 0x3f167918, v54
	v_add_f32_e32 v69, v74, v75
	v_fma_f32 v56, v43, s1, -v56
	v_sub_f32_e32 v74, v74, v75
	v_mul_u32_u24_e32 v75, 10, v0
	v_add_f32_e32 v67, v72, v71
	v_add_f32_e32 v68, v73, v63
	;; [unrolled: 1-line block ×3, first 2 shown]
	v_lshl_add_u32 v84, v75, 2, 0
	ds_write2_b64 v84, v[67:68], v[69:70] offset1:1
	v_add_f32_e32 v67, v34, v32
	s_mov_b32 s0, 0x3f167918
	v_mul_f32_e32 v62, 0x3f4f1bbd, v82
	v_fma_f32 v69, -0.5, v67, v8
	v_sub_f32_e32 v67, v28, v32
	v_sub_f32_e32 v68, v36, v34
	v_fma_f32 v62, v83, s0, -v62
	v_add_f32_e32 v75, v68, v67
	v_add_f32_e32 v67, v36, v28
	v_sub_f32_e32 v72, v71, v72
	v_add_f32_e32 v71, v1, v62
	v_sub_f32_e32 v73, v73, v63
	v_add_f32_e32 v63, v28, v8
	v_fmac_f32_e32 v8, -0.5, v67
	v_sub_f32_e32 v67, v32, v28
	v_sub_f32_e32 v68, v34, v36
	;; [unrolled: 1-line block ×3, first 2 shown]
	ds_write2_b64 v84, v[71:72], v[73:74] offset0:2 offset1:3
	v_mov_b32_e32 v71, v8
	v_add_f32_e32 v67, v68, v67
	v_sub_f32_e32 v68, v60, v30
	s_waitcnt vmcnt(1)
	v_sub_f32_e32 v72, v40, v38
	v_sub_f32_e32 v70, v29, v37
	v_fmac_f32_e32 v71, 0xbf737871, v76
	v_fmac_f32_e32 v8, 0x3f737871, v76
	v_add_f32_e32 v72, v72, v68
	v_add_f32_e32 v68, v38, v30
	v_fmac_f32_e32 v71, 0x3f167918, v70
	v_fmac_f32_e32 v8, 0xbf167918, v70
	v_fma_f32 v85, -0.5, v68, v24
	v_add_f32_e32 v68, v40, v60
	v_fmac_f32_e32 v71, 0x3e9e377a, v67
	v_fmac_f32_e32 v8, 0x3e9e377a, v67
	v_add_f32_e32 v67, v60, v24
	v_fmac_f32_e32 v24, -0.5, v68
	v_sub_f32_e32 v68, v30, v60
	v_sub_f32_e32 v73, v38, v40
	v_add_f32_e32 v68, v73, v68
	v_sub_f32_e32 v73, v31, v39
	v_mov_b32_e32 v92, v24
	v_fmac_f32_e32 v92, 0xbf737871, v73
	v_sub_f32_e32 v74, v61, v41
	v_fmac_f32_e32 v24, 0x3f737871, v73
	v_fmac_f32_e32 v92, 0x3f167918, v74
	;; [unrolled: 1-line block ×5, first 2 shown]
	v_sub_f32_e32 v68, v61, v31
	v_sub_f32_e32 v77, v41, v39
	v_add_f32_e32 v77, v77, v68
	v_add_f32_e32 v68, v39, v31
	v_fma_f32 v93, -0.5, v68, v25
	v_add_f32_e32 v68, v41, v61
	v_add_f32_e32 v94, v61, v25
	v_fmac_f32_e32 v25, -0.5, v68
	v_sub_f32_e32 v79, v30, v38
	v_mov_b32_e32 v95, v25
	v_mov_b32_e32 v96, v85
	v_sub_f32_e32 v78, v60, v40
	v_sub_f32_e32 v60, v31, v61
	;; [unrolled: 1-line block ×3, first 2 shown]
	v_fmac_f32_e32 v95, 0x3f737871, v79
	v_fmac_f32_e32 v25, 0xbf737871, v79
	;; [unrolled: 1-line block ×3, first 2 shown]
	v_mov_b32_e32 v97, v93
	v_add_f32_e32 v60, v61, v60
	v_fmac_f32_e32 v95, 0xbf167918, v78
	v_fmac_f32_e32 v25, 0x3f167918, v78
	v_mov_b32_e32 v80, v69
	v_add_f32_e32 v30, v30, v67
	v_fmac_f32_e32 v96, 0x3f167918, v73
	v_fmac_f32_e32 v97, 0xbf737871, v78
	;; [unrolled: 1-line block ×4, first 2 shown]
	v_add_f32_e32 v60, v32, v63
	v_fmac_f32_e32 v80, 0x3f737871, v70
	v_add_f32_e32 v30, v38, v30
	v_fmac_f32_e32 v96, 0x3e9e377a, v72
	v_fmac_f32_e32 v97, 0xbf167918, v79
	v_add_f32_e32 v60, v34, v60
	v_fmac_f32_e32 v80, 0x3f167918, v76
	v_add_f32_e32 v38, v40, v30
	v_fmac_f32_e32 v97, 0x3e9e377a, v77
	v_mul_f32_e32 v40, 0x3f4f1bbd, v96
	v_mul_f32_e32 v81, 0x3e9e377a, v92
	;; [unrolled: 1-line block ×3, first 2 shown]
	v_fmac_f32_e32 v85, 0xbf737871, v74
	v_add_f32_e32 v63, v36, v60
	v_fmac_f32_e32 v80, 0x3e9e377a, v75
	v_fmac_f32_e32 v40, 0x3f167918, v97
	;; [unrolled: 1-line block ×3, first 2 shown]
	v_fma_f32 v86, v25, s1, -v30
	v_fmac_f32_e32 v85, 0xbf167918, v73
	v_fmac_f32_e32 v93, 0x3f737871, v78
	v_add_f32_e32 v60, v38, v63
	v_add_f32_e32 v61, v80, v40
	v_add_f32_e32 v67, v71, v81
	v_add_f32_e32 v68, v8, v86
	v_add_u32_e32 v30, 0xca8, v84
	v_fmac_f32_e32 v69, 0xbf737871, v70
	v_fmac_f32_e32 v85, 0x3e9e377a, v72
	;; [unrolled: 1-line block ×3, first 2 shown]
	ds_write2_b64 v30, v[60:61], v[67:68] offset1:1
	v_sub_f32_e32 v60, v80, v40
	v_fmac_f32_e32 v69, 0xbf167918, v76
	v_fmac_f32_e32 v93, 0x3e9e377a, v77
	v_mul_f32_e32 v40, 0x3f4f1bbd, v85
	v_fmac_f32_e32 v69, 0x3e9e377a, v75
	v_fma_f32 v70, v93, s0, -v40
	v_sub_f32_e32 v61, v71, v81
	v_sub_f32_e32 v68, v63, v38
	v_add_f32_e32 v67, v69, v70
	v_add_u32_e32 v40, 0xcb8, v84
	ds_write2_b64 v40, v[67:68], v[60:61] offset1:1
	v_sub_f32_e32 v38, v10, v14
	v_sub_f32_e32 v60, v20, v22
	v_add_f32_e32 v38, v60, v38
	v_add_f32_e32 v60, v22, v14
	;; [unrolled: 1-line block ×3, first 2 shown]
	v_fma_f32 v63, -0.5, v60, v4
	v_add_f32_e32 v60, v10, v4
	v_fmac_f32_e32 v4, -0.5, v61
	v_sub_f32_e32 v61, v14, v10
	v_sub_f32_e32 v67, v22, v20
	v_add_f32_e32 v61, v67, v61
	v_sub_f32_e32 v67, v15, v23
	v_mov_b32_e32 v68, v4
	v_fmac_f32_e32 v68, 0xbf737871, v67
	v_sub_f32_e32 v71, v11, v21
	v_fmac_f32_e32 v4, 0x3f737871, v67
	v_fmac_f32_e32 v68, 0x3f167918, v71
	;; [unrolled: 1-line block ×5, first 2 shown]
	v_sub_f32_e32 v61, v58, v12
	s_waitcnt vmcnt(0)
	v_sub_f32_e32 v72, v18, v16
	v_add_f32_e32 v72, v72, v61
	v_add_f32_e32 v61, v16, v12
	v_add_f32_e32 v73, v18, v58
	v_fma_f32 v98, -0.5, v61, v6
	v_add_f32_e32 v61, v58, v6
	v_fmac_f32_e32 v6, -0.5, v73
	v_sub_f32_e32 v73, v12, v58
	v_sub_f32_e32 v74, v16, v18
	v_add_f32_e32 v73, v74, v73
	v_sub_f32_e32 v74, v13, v17
	v_mov_b32_e32 v99, v6
	v_fmac_f32_e32 v99, 0xbf737871, v74
	v_sub_f32_e32 v75, v59, v19
	v_fmac_f32_e32 v6, 0x3f737871, v74
	v_fmac_f32_e32 v99, 0x3f167918, v75
	;; [unrolled: 1-line block ×5, first 2 shown]
	v_sub_f32_e32 v73, v59, v13
	v_sub_f32_e32 v76, v19, v17
	v_add_f32_e32 v73, v76, v73
	v_add_f32_e32 v76, v17, v13
	v_fma_f32 v100, -0.5, v76, v7
	v_add_f32_e32 v76, v19, v59
	v_sub_f32_e32 v77, v12, v16
	v_add_f32_e32 v12, v12, v61
	v_add_f32_e32 v101, v59, v7
	v_fmac_f32_e32 v7, -0.5, v76
	v_add_f32_e32 v12, v16, v12
	v_sub_f32_e32 v76, v58, v18
	v_mov_b32_e32 v102, v7
	v_add_f32_e32 v16, v18, v12
	v_mov_b32_e32 v18, v98
	v_sub_f32_e32 v58, v13, v59
	v_sub_f32_e32 v59, v17, v19
	v_fmac_f32_e32 v102, 0x3f737871, v77
	v_fmac_f32_e32 v7, 0xbf737871, v77
	;; [unrolled: 1-line block ×3, first 2 shown]
	v_mov_b32_e32 v103, v100
	v_add_f32_e32 v58, v59, v58
	v_fmac_f32_e32 v102, 0xbf167918, v76
	v_fmac_f32_e32 v7, 0x3f167918, v76
	v_mov_b32_e32 v79, v63
	v_fmac_f32_e32 v18, 0x3f167918, v74
	v_fmac_f32_e32 v103, 0xbf737871, v76
	;; [unrolled: 1-line block ×5, first 2 shown]
	v_add_f32_e32 v58, v14, v60
	v_fmac_f32_e32 v79, 0x3f737871, v71
	v_fmac_f32_e32 v18, 0x3e9e377a, v72
	;; [unrolled: 1-line block ×6, first 2 shown]
	v_add_f32_e32 v58, v22, v58
	v_fmac_f32_e32 v79, 0x3f167918, v67
	v_fmac_f32_e32 v103, 0x3e9e377a, v73
	v_mul_f32_e32 v80, 0x3f4f1bbd, v18
	v_mul_f32_e32 v81, 0x3e9e377a, v99
	;; [unrolled: 1-line block ×3, first 2 shown]
	v_fmac_f32_e32 v63, 0xbf167918, v67
	v_fmac_f32_e32 v98, 0x3e9e377a, v72
	v_fmac_f32_e32 v100, 0x3f167918, v77
	v_add_f32_e32 v78, v20, v58
	v_fmac_f32_e32 v79, 0x3e9e377a, v38
	v_fmac_f32_e32 v80, 0x3f167918, v103
	;; [unrolled: 1-line block ×3, first 2 shown]
	v_fma_f32 v87, v7, s1, -v12
	v_fmac_f32_e32 v63, 0x3e9e377a, v38
	v_fmac_f32_e32 v100, 0x3e9e377a, v73
	v_mul_f32_e32 v38, 0x3f4f1bbd, v98
	v_add_f32_e32 v58, v16, v78
	v_add_f32_e32 v59, v79, v80
	v_add_f32_e32 v60, v68, v81
	v_add_f32_e32 v61, v4, v87
	v_add_u32_e32 v12, 0x1950, v84
	v_fma_f32 v38, v100, s0, -v38
	ds_write2_b64 v12, v[58:59], v[60:61] offset1:1
	v_sub_f32_e32 v58, v79, v80
	v_sub_f32_e32 v59, v68, v81
	;; [unrolled: 1-line block ×3, first 2 shown]
	v_add_f32_e32 v60, v63, v38
	v_add_u32_e32 v16, 0x1960, v84
	ds_write2_b64 v16, v[60:61], v[58:59] offset1:1
	v_add_f32_e32 v59, v53, v49
	v_sub_f32_e32 v105, v44, v50
	v_add_f32_e32 v44, v51, v45
	v_add_f32_e32 v58, v45, v27
	v_fma_f32 v110, -0.5, v59, v27
	v_fmac_f32_e32 v27, -0.5, v44
	v_sub_f32_e32 v104, v48, v52
	v_mov_b32_e32 v111, v27
	v_add_f32_e32 v58, v49, v58
	v_sub_f32_e32 v48, v45, v49
	v_sub_f32_e32 v49, v49, v45
	;; [unrolled: 1-line block ×3, first 2 shown]
	s_mov_b32 s0, 0xbf737871
	v_mul_f32_e32 v43, 0x3e9e377a, v43
	v_fmac_f32_e32 v111, 0x3f737871, v104
	v_fmac_f32_e32 v27, 0xbf737871, v104
	v_fma_f32 v108, v42, s0, -v43
	v_add_f32_e32 v42, v52, v49
	v_fmac_f32_e32 v111, 0xbf167918, v105
	v_fmac_f32_e32 v27, 0x3f167918, v105
	v_add_f32_e32 v45, v53, v58
	v_fmac_f32_e32 v111, 0x3e9e377a, v42
	v_fmac_f32_e32 v27, 0x3e9e377a, v42
	v_sub_f32_e32 v42, v26, v56
	v_mov_b32_e32 v26, v110
	v_sub_f32_e32 v50, v51, v53
	v_add_f32_e32 v106, v51, v45
	v_add_f32_e32 v45, v47, v66
	v_fmac_f32_e32 v26, 0xbf737871, v105
	v_add_f32_e32 v45, v57, v45
	v_add_f32_e32 v109, v50, v48
	v_mul_f32_e32 v112, 0xbf167918, v64
	v_mul_f32_e32 v113, 0xbf737871, v65
	v_fmac_f32_e32 v26, 0xbf167918, v104
	s_movk_i32 s1, 0xffdc
	v_fmac_f32_e32 v110, 0x3f737871, v105
	v_add_f32_e32 v107, v55, v45
	v_fmac_f32_e32 v112, 0x3f4f1bbd, v54
	v_fmac_f32_e32 v113, 0x3e9e377a, v46
	v_sub_f32_e32 v43, v1, v62
	v_fmac_f32_e32 v26, 0x3e9e377a, v109
	v_sub_f32_e32 v46, v4, v87
	v_mad_i32_i24 v1, v0, s1, v84
	v_fmac_f32_e32 v110, 0x3f167918, v104
	s_mov_b32 s1, 0xbf167918
	v_mul_f32_e32 v4, 0x3f4f1bbd, v83
	v_sub_f32_e32 v45, v69, v70
	v_sub_f32_e32 v44, v8, v86
	;; [unrolled: 1-line block ×3, first 2 shown]
	v_add_f32_e32 v88, v107, v106
	v_add_f32_e32 v89, v26, v112
	;; [unrolled: 1-line block ×4, first 2 shown]
	v_fmac_f32_e32 v110, 0x3e9e377a, v109
	v_fma_f32 v4, v82, s1, -v4
	ds_write_b64 v84, v[42:43] offset:32
	ds_write_b64 v84, v[44:45] offset:3272
	;; [unrolled: 1-line block ×3, first 2 shown]
	s_waitcnt lgkmcnt(0)
	s_barrier
	v_add_u32_e32 v72, 0xc00, v1
	v_add_u32_e32 v73, 0x1800, v1
	;; [unrolled: 1-line block ×13, first 2 shown]
	ds_read2_b32 v[50:51], v1 offset1:81
	ds_read2_b32 v[70:71], v72 offset0:42 offset1:123
	ds_read2_b32 v[68:69], v73 offset0:84 offset1:165
	ds_read2_b32 v[48:49], v1 offset0:162 offset1:243
	ds_read2_b32 v[66:67], v75 offset0:76 offset1:157
	ds_read2_b32 v[64:65], v74 offset0:118 offset1:199
	ds_read2_b32 v[46:47], v76 offset0:68 offset1:149
	ds_read2_b32 v[62:63], v77 offset0:110 offset1:191
	ds_read2_b32 v[60:61], v78 offset0:152 offset1:233
	ds_read2_b32 v[44:45], v79 offset0:102 offset1:183
	ds_read2_b32 v[58:59], v80 offset0:16 offset1:97
	ds_read2_b32 v[56:57], v81 offset0:58 offset1:139
	ds_read2_b32 v[42:43], v38 offset0:136 offset1:217
	ds_read2_b32 v[54:55], v86 offset0:50 offset1:131
	ds_read2_b32 v[52:53], v87 offset0:92 offset1:173
	s_waitcnt lgkmcnt(0)
	s_barrier
	ds_write2_b64 v84, v[88:89], v[90:91] offset1:1
	v_sub_f32_e32 v88, v26, v112
	v_sub_f32_e32 v26, v27, v108
	v_add_f32_e32 v82, v110, v4
	v_sub_f32_e32 v27, v110, v4
	v_add_f32_e32 v4, v29, v9
	v_add_f32_e32 v4, v33, v4
	;; [unrolled: 1-line block ×3, first 2 shown]
	v_sub_f32_e32 v32, v32, v34
	v_sub_f32_e32 v34, v29, v33
	;; [unrolled: 1-line block ×4, first 2 shown]
	v_add_f32_e32 v29, v37, v29
	v_sub_f32_e32 v36, v37, v35
	v_mul_f32_e32 v25, 0x3e9e377a, v25
	v_fma_f32 v24, v24, s0, -v25
	v_add_f32_e32 v25, v36, v34
	v_fma_f32 v36, -0.5, v8, v9
	v_fmac_f32_e32 v9, -0.5, v29
	v_add_f32_e32 v31, v31, v94
	v_mov_b32_e32 v29, v9
	v_add_f32_e32 v4, v35, v4
	v_sub_f32_e32 v35, v35, v37
	v_add_f32_e32 v31, v39, v31
	v_fmac_f32_e32 v29, 0x3f737871, v32
	v_fmac_f32_e32 v9, 0xbf737871, v32
	v_add_f32_e32 v4, v37, v4
	v_add_f32_e32 v37, v41, v31
	v_mov_b32_e32 v31, v36
	v_fmac_f32_e32 v36, 0x3f737871, v28
	v_add_f32_e32 v8, v35, v33
	v_fmac_f32_e32 v29, 0xbf167918, v28
	v_fmac_f32_e32 v9, 0x3f167918, v28
	;; [unrolled: 1-line block ×6, first 2 shown]
	v_mul_f32_e32 v8, 0x3f4f1bbd, v93
	v_fmac_f32_e32 v31, 0xbf167918, v32
	v_fmac_f32_e32 v36, 0x3e9e377a, v25
	v_fma_f32 v35, v85, s1, -v8
	v_add_f32_e32 v13, v13, v101
	v_fmac_f32_e32 v31, 0x3e9e377a, v25
	v_mul_f32_e32 v32, 0xbf167918, v96
	v_mul_f32_e32 v28, 0xbf737871, v92
	v_add_f32_e32 v25, v9, v24
	v_sub_f32_e32 v8, v9, v24
	v_add_f32_e32 v33, v36, v35
	v_sub_f32_e32 v9, v36, v35
	;; [unrolled: 2-line block ×3, first 2 shown]
	v_sub_f32_e32 v22, v11, v15
	v_sub_f32_e32 v10, v10, v20
	;; [unrolled: 1-line block ×3, first 2 shown]
	v_add_f32_e32 v13, v17, v13
	v_mul_f32_e32 v7, 0x3e9e377a, v7
	v_fmac_f32_e32 v32, 0x3f4f1bbd, v97
	v_fmac_f32_e32 v28, 0x3e9e377a, v95
	v_add_f32_e32 v17, v19, v13
	v_fma_f32 v19, v6, s0, -v7
	v_add_f32_e32 v6, v20, v22
	v_fma_f32 v20, -0.5, v35, v5
	v_add_f32_e32 v24, v29, v28
	v_sub_f32_e32 v29, v29, v28
	v_sub_f32_e32 v28, v31, v32
	v_add_f32_e32 v32, v31, v32
	v_add_f32_e32 v31, v37, v4
	v_sub_f32_e32 v34, v4, v37
	v_add_f32_e32 v4, v11, v5
	v_mov_b32_e32 v13, v20
	v_add_f32_e32 v4, v15, v4
	v_sub_f32_e32 v15, v15, v11
	v_add_f32_e32 v11, v21, v11
	v_fmac_f32_e32 v13, 0xbf737871, v10
	v_fmac_f32_e32 v20, 0x3f737871, v10
	v_add_f32_e32 v4, v23, v4
	v_sub_f32_e32 v23, v23, v21
	v_fmac_f32_e32 v13, 0xbf167918, v14
	v_fmac_f32_e32 v20, 0x3f167918, v14
	v_fmac_f32_e32 v5, -0.5, v11
	v_fmac_f32_e32 v13, 0x3e9e377a, v6
	v_fmac_f32_e32 v20, 0x3e9e377a, v6
	v_add_f32_e32 v6, v23, v15
	v_mov_b32_e32 v15, v5
	v_fmac_f32_e32 v15, 0x3f737871, v14
	v_fmac_f32_e32 v5, 0xbf737871, v14
	;; [unrolled: 1-line block ×4, first 2 shown]
	v_add_f32_e32 v4, v21, v4
	v_fmac_f32_e32 v15, 0x3e9e377a, v6
	v_fmac_f32_e32 v5, 0x3e9e377a, v6
	v_mul_f32_e32 v10, 0xbf167918, v18
	v_mul_f32_e32 v14, 0xbf737871, v99
	;; [unrolled: 1-line block ×3, first 2 shown]
	v_sub_f32_e32 v89, v111, v113
	v_sub_f32_e32 v83, v106, v107
	v_fmac_f32_e32 v10, 0x3f4f1bbd, v103
	v_fmac_f32_e32 v14, 0x3e9e377a, v102
	v_fma_f32 v21, v98, s1, -v6
	v_add_f32_e32 v6, v17, v4
	v_sub_f32_e32 v18, v4, v17
	v_sub_f32_e32 v4, v5, v19
	s_movk_i32 s0, 0xcd
	v_add_f32_e32 v7, v13, v10
	v_sub_f32_e32 v10, v13, v10
	v_sub_f32_e32 v11, v15, v14
	v_add_f32_e32 v13, v15, v14
	v_add_f32_e32 v14, v5, v19
	;; [unrolled: 1-line block ×3, first 2 shown]
	v_sub_f32_e32 v5, v20, v21
	ds_write2_b64 v84, v[82:83], v[88:89] offset0:2 offset1:3
	ds_write_b64 v84, v[26:27] offset:32
	ds_write2_b64 v30, v[31:32], v[24:25] offset1:1
	ds_write2_b64 v40, v[33:34], v[28:29] offset1:1
	ds_write_b64 v84, v[8:9] offset:3272
	ds_write2_b64 v12, v[6:7], v[13:14] offset1:1
	ds_write2_b64 v16, v[17:18], v[10:11] offset1:1
	ds_write_b64 v84, v[4:5] offset:6512
	v_mul_lo_u16_sdwa v4, v0, s0 dst_sel:DWORD dst_unused:UNUSED_PAD src0_sel:BYTE_0 src1_sel:DWORD
	v_lshrrev_b16_e32 v6, 11, v4
	v_mul_lo_u16_e32 v4, 10, v6
	v_sub_u16_e32 v7, v0, v4
	v_mov_b32_e32 v90, 4
	v_lshlrev_b32_sdwa v4, v90, v7 dst_sel:DWORD dst_unused:UNUSED_PAD src0_sel:DWORD src1_sel:BYTE_0
	v_add_u32_e32 v41, 0x51, v0
	s_waitcnt lgkmcnt(0)
	s_barrier
	global_load_dwordx4 v[16:19], v4, s[8:9]
	v_mul_lo_u16_sdwa v4, v41, s0 dst_sel:DWORD dst_unused:UNUSED_PAD src0_sel:BYTE_0 src1_sel:DWORD
	v_lshrrev_b16_e32 v4, 11, v4
	v_mul_lo_u16_e32 v5, 10, v4
	v_sub_u16_e32 v5, v41, v5
	v_lshlrev_b32_sdwa v8, v90, v5 dst_sel:DWORD dst_unused:UNUSED_PAD src0_sel:DWORD src1_sel:BYTE_0
	v_add_u32_e32 v40, 0xa2, v0
	global_load_dwordx4 v[20:23], v8, s[8:9]
	v_mul_lo_u16_sdwa v8, v40, s0 dst_sel:DWORD dst_unused:UNUSED_PAD src0_sel:BYTE_0 src1_sel:DWORD
	v_lshrrev_b16_e32 v8, 11, v8
	v_mul_lo_u16_e32 v9, 10, v8
	v_sub_u16_e32 v9, v40, v9
	v_lshlrev_b32_sdwa v10, v90, v9 dst_sel:DWORD dst_unused:UNUSED_PAD src0_sel:DWORD src1_sel:BYTE_0
	v_add_u32_e32 v88, 0xf3, v0
	s_mov_b32 s0, 0xcccd
	global_load_dwordx4 v[24:27], v10, s[8:9]
	v_mul_u32_u24_sdwa v10, v88, s0 dst_sel:DWORD dst_unused:UNUSED_PAD src0_sel:WORD_0 src1_sel:DWORD
	v_lshrrev_b32_e32 v10, 19, v10
	v_mul_lo_u16_e32 v11, 10, v10
	v_sub_u16_e32 v11, v88, v11
	v_lshlrev_b32_e32 v12, 4, v11
	v_add_u32_e32 v89, 0x144, v0
	global_load_dwordx4 v[28:31], v12, s[8:9]
	v_mul_u32_u24_sdwa v12, v89, s0 dst_sel:DWORD dst_unused:UNUSED_PAD src0_sel:WORD_0 src1_sel:DWORD
	v_lshrrev_b32_e32 v12, 19, v12
	v_mul_lo_u16_e32 v13, 10, v12
	v_sub_u16_e32 v13, v89, v13
	v_lshlrev_b32_e32 v14, 4, v13
	v_add_u32_e32 v82, 0x195, v0
	;; [unrolled: 7-line block ×4, first 2 shown]
	global_load_dwordx4 v[95:98], v36, s[8:9]
	v_mul_u32_u24_sdwa v36, v39, s0 dst_sel:DWORD dst_unused:UNUSED_PAD src0_sel:WORD_0 src1_sel:DWORD
	v_lshrrev_b32_e32 v115, 19, v36
	v_mul_lo_u16_e32 v36, 10, v115
	v_sub_u16_e32 v116, v39, v36
	v_lshlrev_b32_e32 v36, 4, v116
	global_load_dwordx4 v[99:102], v36, s[8:9]
	v_add_u32_e32 v84, 0x288, v0
	v_mul_u32_u24_sdwa v85, v84, s0 dst_sel:DWORD dst_unused:UNUSED_PAD src0_sel:WORD_0 src1_sel:DWORD
	v_lshrrev_b32_e32 v117, 19, v85
	v_mul_lo_u16_e32 v85, 10, v117
	v_sub_u16_e32 v118, v84, v85
	v_lshlrev_b32_e32 v85, 4, v118
	ds_read2_b32 v[36:37], v72 offset0:42 offset1:123
	ds_read2_b32 v[111:112], v73 offset0:84 offset1:165
	global_load_dwordx4 v[103:106], v85, s[8:9]
	v_add_u32_e32 v85, 0x2d9, v0
	v_mul_u32_u24_sdwa v107, v85, s0 dst_sel:DWORD dst_unused:UNUSED_PAD src0_sel:WORD_0 src1_sel:DWORD
	v_lshrrev_b32_e32 v120, 19, v107
	v_mul_lo_u16_e32 v107, 10, v120
	v_sub_u16_e32 v121, v85, v107
	v_lshlrev_b32_e32 v107, 4, v121
	global_load_dwordx4 v[107:110], v107, s[8:9]
	v_mul_u32_u24_e32 v6, 0x78, v6
	v_mul_u32_u24_e32 v4, 0x78, v4
	s_movk_i32 s0, 0x89
	s_waitcnt vmcnt(9) lgkmcnt(1)
	v_mul_f32_e32 v119, v36, v17
	v_fma_f32 v119, v70, v16, -v119
	v_mul_f32_e32 v70, v70, v17
	v_fmac_f32_e32 v70, v36, v16
	s_waitcnt lgkmcnt(0)
	v_mul_f32_e32 v16, v111, v19
	v_fma_f32 v122, v68, v18, -v16
	v_mul_f32_e32 v68, v68, v19
	s_waitcnt vmcnt(8)
	v_mul_f32_e32 v16, v37, v21
	v_fmac_f32_e32 v68, v111, v18
	v_fma_f32 v111, v71, v20, -v16
	ds_read2_b32 v[16:17], v75 offset0:76 offset1:157
	v_mul_f32_e32 v71, v71, v21
	v_mul_f32_e32 v18, v112, v23
	v_fmac_f32_e32 v71, v37, v20
	v_fma_f32 v37, v69, v22, -v18
	ds_read2_b32 v[18:19], v74 offset0:118 offset1:199
	v_mul_f32_e32 v123, v69, v23
	s_waitcnt vmcnt(7) lgkmcnt(1)
	v_mul_f32_e32 v20, v16, v25
	v_fmac_f32_e32 v123, v112, v22
	v_fma_f32 v112, v66, v24, -v20
	v_mul_f32_e32 v66, v66, v25
	v_fmac_f32_e32 v66, v16, v24
	s_waitcnt lgkmcnt(0)
	v_mul_f32_e32 v16, v18, v27
	v_fma_f32 v124, v64, v26, -v16
	s_waitcnt vmcnt(6)
	v_mul_f32_e32 v16, v17, v29
	v_mul_f32_e32 v64, v64, v27
	v_fma_f32 v125, v67, v28, -v16
	v_mul_f32_e32 v67, v67, v29
	v_fmac_f32_e32 v64, v18, v26
	v_fmac_f32_e32 v67, v17, v28
	v_mul_f32_e32 v18, v19, v31
	ds_read2_b32 v[16:17], v77 offset0:110 offset1:191
	v_fma_f32 v126, v65, v30, -v18
	v_mul_f32_e32 v65, v65, v31
	v_fmac_f32_e32 v65, v19, v30
	ds_read2_b32 v[18:19], v78 offset0:152 offset1:233
	s_waitcnt vmcnt(5) lgkmcnt(1)
	v_mul_f32_e32 v20, v16, v33
	v_fma_f32 v127, v62, v32, -v20
	v_mul_f32_e32 v62, v62, v33
	v_fmac_f32_e32 v62, v16, v32
	s_waitcnt lgkmcnt(0)
	v_mul_f32_e32 v16, v18, v35
	v_fma_f32 v128, v60, v34, -v16
	s_waitcnt vmcnt(4)
	v_mul_f32_e32 v16, v17, v92
	v_mul_f32_e32 v60, v60, v35
	v_fma_f32 v129, v63, v91, -v16
	v_mul_f32_e32 v63, v63, v92
	v_fmac_f32_e32 v60, v18, v34
	v_fmac_f32_e32 v63, v17, v91
	v_mul_f32_e32 v18, v19, v94
	ds_read2_b32 v[16:17], v80 offset0:16 offset1:97
	v_fma_f32 v91, v61, v93, -v18
	v_mul_f32_e32 v61, v61, v94
	v_fmac_f32_e32 v61, v19, v93
	ds_read2_b32 v[18:19], v81 offset0:58 offset1:139
	s_waitcnt vmcnt(3) lgkmcnt(1)
	v_mul_f32_e32 v20, v16, v96
	;; [unrolled: 21-line block ×3, first 2 shown]
	v_fma_f32 v96, v54, v103, -v20
	v_mul_f32_e32 v54, v54, v104
	v_fmac_f32_e32 v54, v16, v103
	s_waitcnt lgkmcnt(0)
	v_mul_f32_e32 v16, v18, v106
	v_fma_f32 v97, v52, v105, -v16
	v_mul_f32_e32 v98, v52, v106
	v_mov_b32_e32 v52, 2
	v_lshlrev_b32_sdwa v7, v52, v7 dst_sel:DWORD dst_unused:UNUSED_PAD src0_sel:DWORD src1_sel:BYTE_0
	s_waitcnt vmcnt(0)
	v_mul_f32_e32 v16, v17, v108
	v_add3_u32 v101, 0, v6, v7
	v_add_f32_e32 v7, v119, v122
	v_fma_f32 v99, v55, v107, -v16
	v_mul_f32_e32 v55, v55, v108
	v_mul_f32_e32 v16, v19, v110
	v_fma_f32 v7, -0.5, v7, v50
	v_fmac_f32_e32 v55, v17, v107
	v_fma_f32 v100, v53, v109, -v16
	v_add_f32_e32 v6, v50, v119
	v_sub_f32_e32 v16, v70, v68
	v_mov_b32_e32 v17, v7
	v_add_f32_e32 v6, v6, v122
	v_fmac_f32_e32 v17, 0x3f5db3d7, v16
	v_fmac_f32_e32 v7, 0xbf5db3d7, v16
	v_add_f32_e32 v16, v111, v37
	ds_read2_b32 v[27:28], v1 offset1:81
	ds_read2_b32 v[29:30], v1 offset0:162 offset1:243
	ds_read2_b32 v[31:32], v76 offset0:68 offset1:149
	;; [unrolled: 1-line block ×4, first 2 shown]
	s_waitcnt lgkmcnt(0)
	s_barrier
	ds_write2_b32 v101, v6, v17 offset1:10
	v_add_f32_e32 v6, v51, v111
	v_fmac_f32_e32 v51, -0.5, v16
	v_lshlrev_b32_sdwa v5, v52, v5 dst_sel:DWORD dst_unused:UNUSED_PAD src0_sel:DWORD src1_sel:BYTE_0
	v_add3_u32 v102, 0, v4, v5
	v_add_f32_e32 v4, v6, v37
	v_sub_f32_e32 v5, v71, v123
	v_mov_b32_e32 v6, v51
	v_fmac_f32_e32 v6, 0x3f5db3d7, v5
	ds_write_b32 v101, v7 offset:80
	ds_write2_b32 v102, v4, v6 offset1:10
	v_fmac_f32_e32 v51, 0xbf5db3d7, v5
	v_mul_u32_u24_e32 v4, 0x78, v8
	v_lshlrev_b32_sdwa v5, v52, v9 dst_sel:DWORD dst_unused:UNUSED_PAD src0_sel:DWORD src1_sel:BYTE_0
	v_fmac_f32_e32 v98, v18, v105
	v_add3_u32 v105, 0, v4, v5
	v_add_f32_e32 v5, v112, v124
	v_fma_f32 v5, -0.5, v5, v48
	v_add_f32_e32 v4, v48, v112
	v_sub_f32_e32 v6, v66, v64
	v_mov_b32_e32 v7, v5
	v_add_f32_e32 v4, v4, v124
	v_fmac_f32_e32 v7, 0x3f5db3d7, v6
	v_fmac_f32_e32 v5, 0xbf5db3d7, v6
	v_add_f32_e32 v6, v125, v126
	ds_write_b32 v102, v51 offset:80
	ds_write2_b32 v105, v4, v7 offset1:10
	v_add_f32_e32 v4, v49, v125
	v_fmac_f32_e32 v49, -0.5, v6
	ds_write_b32 v105, v5 offset:80
	v_mul_u32_u24_e32 v5, 0x78, v10
	v_lshlrev_b32_e32 v6, 2, v11
	v_add3_u32 v48, 0, v5, v6
	v_sub_f32_e32 v5, v67, v65
	v_mov_b32_e32 v6, v49
	v_add_f32_e32 v4, v4, v126
	v_fmac_f32_e32 v6, 0x3f5db3d7, v5
	ds_write2_b32 v48, v4, v6 offset1:10
	v_fmac_f32_e32 v49, 0xbf5db3d7, v5
	v_mul_u32_u24_e32 v4, 0x78, v12
	v_lshlrev_b32_e32 v5, 2, v13
	ds_write_b32 v48, v49 offset:80
	v_add3_u32 v49, 0, v4, v5
	v_add_f32_e32 v5, v127, v128
	v_fma_f32 v5, -0.5, v5, v46
	v_add_f32_e32 v4, v46, v127
	v_sub_f32_e32 v6, v62, v60
	v_mov_b32_e32 v7, v5
	v_add_f32_e32 v4, v4, v128
	v_fmac_f32_e32 v7, 0x3f5db3d7, v6
	v_fmac_f32_e32 v5, 0xbf5db3d7, v6
	v_add_f32_e32 v6, v129, v91
	ds_write2_b32 v49, v4, v7 offset1:10
	v_add_f32_e32 v4, v47, v129
	v_fmac_f32_e32 v47, -0.5, v6
	ds_write_b32 v49, v5 offset:80
	v_mul_u32_u24_e32 v5, 0x78, v14
	v_lshlrev_b32_e32 v6, 2, v15
	v_add3_u32 v46, 0, v5, v6
	v_sub_f32_e32 v5, v63, v61
	v_mov_b32_e32 v6, v47
	v_add_f32_e32 v4, v4, v91
	v_fmac_f32_e32 v6, 0x3f5db3d7, v5
	ds_write2_b32 v46, v4, v6 offset1:10
	v_fmac_f32_e32 v47, 0xbf5db3d7, v5
	v_mul_u32_u24_e32 v4, 0x78, v113
	v_lshlrev_b32_e32 v5, 2, v114
	ds_write_b32 v46, v47 offset:80
	v_add3_u32 v47, 0, v4, v5
	v_add_f32_e32 v5, v92, v93
	v_fma_f32 v5, -0.5, v5, v44
	v_add_f32_e32 v4, v44, v92
	v_sub_f32_e32 v6, v58, v56
	v_mov_b32_e32 v7, v5
	v_add_f32_e32 v4, v4, v93
	v_fmac_f32_e32 v7, 0x3f5db3d7, v6
	v_fmac_f32_e32 v5, 0xbf5db3d7, v6
	v_add_f32_e32 v6, v94, v95
	ds_write2_b32 v47, v4, v7 offset1:10
	v_add_f32_e32 v4, v45, v94
	v_fmac_f32_e32 v45, -0.5, v6
	ds_write_b32 v47, v5 offset:80
	v_mul_u32_u24_e32 v5, 0x78, v115
	v_lshlrev_b32_e32 v6, 2, v116
	v_add3_u32 v44, 0, v5, v6
	v_sub_f32_e32 v5, v59, v57
	v_mov_b32_e32 v6, v45
	v_add_f32_e32 v4, v4, v95
	v_fmac_f32_e32 v6, 0x3f5db3d7, v5
	ds_write2_b32 v44, v4, v6 offset1:10
	v_fmac_f32_e32 v45, 0xbf5db3d7, v5
	v_mul_u32_u24_e32 v4, 0x78, v117
	v_lshlrev_b32_e32 v5, 2, v118
	ds_write_b32 v44, v45 offset:80
	v_add3_u32 v45, 0, v4, v5
	v_add_f32_e32 v5, v96, v97
	v_fma_f32 v5, -0.5, v5, v42
	v_add_f32_e32 v4, v42, v96
	v_sub_f32_e32 v6, v54, v98
	v_mov_b32_e32 v7, v5
	v_mul_f32_e32 v53, v53, v110
	v_add_f32_e32 v4, v4, v97
	v_fmac_f32_e32 v7, 0x3f5db3d7, v6
	v_fmac_f32_e32 v5, 0xbf5db3d7, v6
	v_add_f32_e32 v6, v99, v100
	v_fmac_f32_e32 v53, v19, v109
	ds_write2_b32 v45, v4, v7 offset1:10
	v_add_f32_e32 v4, v43, v99
	v_fmac_f32_e32 v43, -0.5, v6
	ds_write_b32 v45, v5 offset:80
	v_mul_u32_u24_e32 v5, 0x78, v120
	v_lshlrev_b32_e32 v6, 2, v121
	v_add3_u32 v42, 0, v5, v6
	v_sub_f32_e32 v5, v55, v53
	v_mov_b32_e32 v6, v43
	v_add_f32_e32 v4, v4, v100
	v_fmac_f32_e32 v6, 0x3f5db3d7, v5
	ds_write2_b32 v42, v4, v6 offset1:10
	v_fmac_f32_e32 v43, 0xbf5db3d7, v5
	v_add_f32_e32 v4, v27, v70
	ds_write_b32 v42, v43 offset:80
	v_add_f32_e32 v43, v4, v68
	v_add_f32_e32 v4, v70, v68
	v_fma_f32 v106, -0.5, v4, v27
	v_sub_f32_e32 v68, v119, v122
	v_mov_b32_e32 v107, v106
	v_fmac_f32_e32 v107, 0xbf5db3d7, v68
	v_fmac_f32_e32 v106, 0x3f5db3d7, v68
	v_add_f32_e32 v68, v71, v123
	s_waitcnt lgkmcnt(0)
	s_barrier
	ds_read2_b32 v[12:13], v1 offset1:81
	ds_read2_b32 v[50:51], v72 offset0:42 offset1:123
	ds_read2_b32 v[69:70], v73 offset0:84 offset1:165
	;; [unrolled: 1-line block ×14, first 2 shown]
	s_waitcnt lgkmcnt(0)
	s_barrier
	ds_write2_b32 v101, v43, v107 offset1:10
	v_add_f32_e32 v43, v28, v71
	v_fmac_f32_e32 v28, -0.5, v68
	v_sub_f32_e32 v37, v111, v37
	v_mov_b32_e32 v68, v28
	v_add_f32_e32 v43, v43, v123
	v_fmac_f32_e32 v68, 0xbf5db3d7, v37
	v_fmac_f32_e32 v28, 0x3f5db3d7, v37
	v_add_f32_e32 v37, v66, v64
	ds_write_b32 v101, v106 offset:80
	ds_write2_b32 v102, v43, v68 offset1:10
	ds_write_b32 v102, v28 offset:80
	v_add_f32_e32 v28, v29, v66
	v_sub_f32_e32 v43, v112, v124
	v_fma_f32 v29, -0.5, v37, v29
	v_mov_b32_e32 v37, v29
	v_fmac_f32_e32 v29, 0x3f5db3d7, v43
	v_add_f32_e32 v28, v28, v64
	v_fmac_f32_e32 v37, 0xbf5db3d7, v43
	ds_write_b32 v105, v29 offset:80
	v_add_f32_e32 v29, v67, v65
	ds_write2_b32 v105, v28, v37 offset1:10
	v_add_f32_e32 v28, v30, v67
	v_fmac_f32_e32 v30, -0.5, v29
	v_sub_f32_e32 v29, v125, v126
	v_mov_b32_e32 v37, v30
	v_fmac_f32_e32 v37, 0xbf5db3d7, v29
	v_fmac_f32_e32 v30, 0x3f5db3d7, v29
	v_add_f32_e32 v29, v62, v60
	v_add_f32_e32 v28, v28, v65
	ds_write_b32 v48, v30 offset:80
	v_sub_f32_e32 v30, v127, v128
	v_fma_f32 v29, -0.5, v29, v31
	ds_write2_b32 v48, v28, v37 offset1:10
	v_add_f32_e32 v28, v31, v62
	v_mov_b32_e32 v31, v29
	v_fmac_f32_e32 v29, 0x3f5db3d7, v30
	v_add_f32_e32 v28, v28, v60
	v_fmac_f32_e32 v31, 0xbf5db3d7, v30
	ds_write_b32 v49, v29 offset:80
	v_add_f32_e32 v29, v63, v61
	ds_write2_b32 v49, v28, v31 offset1:10
	v_add_f32_e32 v28, v32, v63
	v_fmac_f32_e32 v32, -0.5, v29
	v_add_f32_e32 v31, v58, v56
	v_sub_f32_e32 v29, v129, v91
	v_mov_b32_e32 v30, v32
	v_fma_f32 v31, -0.5, v31, v33
	v_fmac_f32_e32 v30, 0xbf5db3d7, v29
	v_fmac_f32_e32 v32, 0x3f5db3d7, v29
	v_add_f32_e32 v29, v33, v58
	v_sub_f32_e32 v37, v92, v93
	v_mov_b32_e32 v33, v31
	v_add_f32_e32 v43, v59, v57
	v_fmac_f32_e32 v33, 0xbf5db3d7, v37
	v_fmac_f32_e32 v31, 0x3f5db3d7, v37
	v_add_f32_e32 v37, v34, v59
	v_fmac_f32_e32 v34, -0.5, v43
	v_sub_f32_e32 v43, v94, v95
	v_mov_b32_e32 v48, v34
	v_add_f32_e32 v49, v54, v98
	v_fmac_f32_e32 v48, 0xbf5db3d7, v43
	v_fmac_f32_e32 v34, 0x3f5db3d7, v43
	v_add_f32_e32 v43, v35, v54
	v_fma_f32 v35, -0.5, v49, v35
	v_sub_f32_e32 v54, v96, v97
	v_mov_b32_e32 v49, v35
	v_fmac_f32_e32 v49, 0xbf5db3d7, v54
	v_fmac_f32_e32 v35, 0x3f5db3d7, v54
	v_add_f32_e32 v54, v36, v55
	v_add_f32_e32 v54, v54, v53
	;; [unrolled: 1-line block ×3, first 2 shown]
	v_fmac_f32_e32 v36, -0.5, v53
	v_add_f32_e32 v28, v28, v61
	v_sub_f32_e32 v53, v99, v100
	v_mov_b32_e32 v55, v36
	v_add_f32_e32 v29, v29, v56
	v_add_f32_e32 v37, v37, v57
	;; [unrolled: 1-line block ×3, first 2 shown]
	v_fmac_f32_e32 v55, 0xbf5db3d7, v53
	v_fmac_f32_e32 v36, 0x3f5db3d7, v53
	ds_write2_b32 v46, v28, v30 offset1:10
	ds_write_b32 v46, v32 offset:80
	ds_write2_b32 v47, v29, v33 offset1:10
	ds_write_b32 v47, v31 offset:80
	;; [unrolled: 2-line block ×5, first 2 shown]
	v_mul_lo_u16_sdwa v28, v0, s0 dst_sel:DWORD dst_unused:UNUSED_PAD src0_sel:BYTE_0 src1_sel:DWORD
	v_lshrrev_b16_e32 v30, 12, v28
	v_mul_lo_u16_e32 v28, 30, v30
	v_sub_u16_e32 v31, v0, v28
	v_lshlrev_b32_sdwa v28, v90, v31 dst_sel:DWORD dst_unused:UNUSED_PAD src0_sel:DWORD src1_sel:BYTE_0
	s_waitcnt lgkmcnt(0)
	s_barrier
	global_load_dwordx4 v[42:45], v28, s[8:9] offset:160
	v_mul_lo_u16_sdwa v28, v41, s0 dst_sel:DWORD dst_unused:UNUSED_PAD src0_sel:BYTE_0 src1_sel:DWORD
	v_lshrrev_b16_e32 v28, 12, v28
	v_mul_lo_u16_e32 v29, 30, v28
	v_sub_u16_e32 v29, v41, v29
	v_lshlrev_b32_sdwa v32, v90, v29 dst_sel:DWORD dst_unused:UNUSED_PAD src0_sel:DWORD src1_sel:BYTE_0
	global_load_dwordx4 v[46:49], v32, s[8:9] offset:160
	v_mul_lo_u16_sdwa v32, v40, s0 dst_sel:DWORD dst_unused:UNUSED_PAD src0_sel:BYTE_0 src1_sel:DWORD
	v_lshrrev_b16_e32 v32, 12, v32
	v_mul_lo_u16_e32 v33, 30, v32
	v_sub_u16_e32 v33, v40, v33
	v_lshlrev_b32_sdwa v34, v90, v33 dst_sel:DWORD dst_unused:UNUSED_PAD src0_sel:DWORD src1_sel:BYTE_0
	s_mov_b32 s0, 0x8889
	global_load_dwordx4 v[53:56], v34, s[8:9] offset:160
	v_mul_u32_u24_sdwa v34, v88, s0 dst_sel:DWORD dst_unused:UNUSED_PAD src0_sel:WORD_0 src1_sel:DWORD
	v_lshrrev_b32_e32 v34, 20, v34
	v_mul_lo_u16_e32 v35, 30, v34
	v_sub_u16_e32 v35, v88, v35
	v_lshlrev_b32_e32 v36, 4, v35
	global_load_dwordx4 v[57:60], v36, s[8:9] offset:160
	v_mul_u32_u24_sdwa v36, v89, s0 dst_sel:DWORD dst_unused:UNUSED_PAD src0_sel:WORD_0 src1_sel:DWORD
	v_lshrrev_b32_e32 v71, 20, v36
	v_mul_lo_u16_e32 v36, 30, v71
	v_sub_u16_e32 v107, v89, v36
	v_lshlrev_b32_e32 v36, 4, v107
	;; [unrolled: 6-line block ×3, first 2 shown]
	global_load_dwordx4 v[65:68], v36, s[8:9] offset:160
	ds_read2_b32 v[36:37], v72 offset0:42 offset1:123
	ds_read2_b32 v[105:106], v73 offset0:84 offset1:165
	v_mul_u32_u24_sdwa v91, v83, s0 dst_sel:DWORD dst_unused:UNUSED_PAD src0_sel:WORD_0 src1_sel:DWORD
	v_lshrrev_b32_e32 v110, 20, v91
	v_mul_lo_u16_e32 v91, 30, v110
	v_sub_u16_e32 v111, v83, v91
	v_lshlrev_b32_e32 v91, 4, v111
	global_load_dwordx4 v[91:94], v91, s[8:9] offset:160
	s_waitcnt vmcnt(6) lgkmcnt(1)
	v_mul_f32_e32 v95, v36, v43
	v_fma_f32 v112, v50, v42, -v95
	v_mul_u32_u24_sdwa v95, v39, s0 dst_sel:DWORD dst_unused:UNUSED_PAD src0_sel:WORD_0 src1_sel:DWORD
	v_lshrrev_b32_e32 v113, 20, v95
	v_mul_f32_e32 v115, v50, v43
	v_mul_lo_u16_e32 v95, 30, v113
	v_fmac_f32_e32 v115, v36, v42
	s_waitcnt lgkmcnt(0)
	v_mul_f32_e32 v36, v105, v45
	v_sub_u16_e32 v114, v39, v95
	v_fma_f32 v116, v69, v44, -v36
	v_mul_u32_u24_sdwa v36, v84, s0 dst_sel:DWORD dst_unused:UNUSED_PAD src0_sel:WORD_0 src1_sel:DWORD
	v_lshlrev_b32_e32 v95, 4, v114
	v_lshrrev_b32_e32 v117, 20, v36
	global_load_dwordx4 v[95:98], v95, s[8:9] offset:160
	v_mul_lo_u16_e32 v36, 30, v117
	v_sub_u16_e32 v118, v84, v36
	v_lshlrev_b32_e32 v36, 4, v118
	global_load_dwordx4 v[99:102], v36, s[8:9] offset:160
	v_mul_f32_e32 v69, v69, v45
	v_mul_u32_u24_sdwa v36, v85, s0 dst_sel:DWORD dst_unused:UNUSED_PAD src0_sel:WORD_0 src1_sel:DWORD
	v_fmac_f32_e32 v69, v105, v44
	v_lshrrev_b32_e32 v105, 20, v36
	v_mul_lo_u16_e32 v36, 30, v105
	v_sub_u16_e32 v119, v85, v36
	v_lshlrev_b32_e32 v36, 4, v119
	global_load_dwordx4 v[42:45], v36, s[8:9] offset:160
	s_waitcnt vmcnt(8)
	v_mul_f32_e32 v36, v37, v47
	v_mul_f32_e32 v121, v51, v47
	v_fma_f32 v120, v51, v46, -v36
	v_fmac_f32_e32 v121, v37, v46
	v_mul_f32_e32 v46, v106, v49
	ds_read2_b32 v[36:37], v75 offset0:76 offset1:157
	v_fma_f32 v122, v70, v48, -v46
	ds_read2_b32 v[46:47], v74 offset0:118 offset1:199
	v_mul_f32_e32 v70, v70, v49
	v_fmac_f32_e32 v70, v106, v48
	s_waitcnt vmcnt(7) lgkmcnt(1)
	v_mul_f32_e32 v48, v36, v54
	v_mul_f32_e32 v54, v103, v54
	v_fmac_f32_e32 v54, v36, v53
	s_waitcnt lgkmcnt(0)
	v_mul_f32_e32 v36, v46, v56
	v_fma_f32 v106, v103, v53, -v48
	v_fma_f32 v53, v26, v55, -v36
	v_mul_f32_e32 v56, v26, v56
	s_waitcnt vmcnt(6)
	v_mul_f32_e32 v26, v37, v58
	v_mul_f32_e32 v58, v104, v58
	v_fmac_f32_e32 v56, v46, v55
	v_fma_f32 v55, v104, v57, -v26
	v_fmac_f32_e32 v58, v37, v57
	v_mul_f32_e32 v26, v47, v60
	ds_read2_b32 v[36:37], v77 offset0:110 offset1:191
	v_fma_f32 v57, v27, v59, -v26
	v_mul_f32_e32 v60, v27, v60
	ds_read2_b32 v[26:27], v78 offset0:152 offset1:233
	v_fmac_f32_e32 v60, v47, v59
	s_waitcnt vmcnt(5) lgkmcnt(1)
	v_mul_f32_e32 v46, v36, v62
	v_fma_f32 v59, v24, v61, -v46
	v_mul_f32_e32 v62, v24, v62
	s_waitcnt lgkmcnt(0)
	v_mul_f32_e32 v24, v26, v64
	v_fmac_f32_e32 v62, v36, v61
	v_fma_f32 v61, v22, v63, -v24
	v_mul_f32_e32 v64, v22, v64
	s_waitcnt vmcnt(4)
	v_mul_f32_e32 v22, v37, v66
	v_fmac_f32_e32 v64, v26, v63
	v_fma_f32 v63, v25, v65, -v22
	v_mul_f32_e32 v66, v25, v66
	v_mul_f32_e32 v22, v27, v68
	ds_read2_b32 v[24:25], v80 offset0:16 offset1:97
	v_fmac_f32_e32 v66, v37, v65
	v_fma_f32 v65, v23, v67, -v22
	v_mul_f32_e32 v68, v23, v68
	ds_read2_b32 v[22:23], v81 offset0:58 offset1:139
	s_waitcnt vmcnt(3) lgkmcnt(1)
	v_mul_f32_e32 v26, v24, v92
	v_fmac_f32_e32 v68, v27, v67
	v_fma_f32 v67, v20, v91, -v26
	v_mul_f32_e32 v92, v20, v92
	s_waitcnt lgkmcnt(0)
	v_mul_f32_e32 v20, v22, v94
	v_fmac_f32_e32 v92, v24, v91
	v_fma_f32 v91, v18, v93, -v20
	v_mul_f32_e32 v94, v18, v94
	v_fmac_f32_e32 v94, v22, v93
	s_waitcnt vmcnt(2)
	v_mul_f32_e32 v18, v25, v96
	v_fma_f32 v93, v21, v95, -v18
	v_mul_f32_e32 v96, v21, v96
	v_mul_f32_e32 v18, v23, v98
	ds_read2_b32 v[20:21], v86 offset0:50 offset1:131
	v_fmac_f32_e32 v96, v25, v95
	v_fma_f32 v95, v19, v97, -v18
	v_mul_f32_e32 v98, v19, v98
	ds_read2_b32 v[18:19], v87 offset0:92 offset1:173
	s_waitcnt vmcnt(1) lgkmcnt(1)
	v_mul_f32_e32 v22, v20, v100
	v_fmac_f32_e32 v98, v23, v97
	v_fma_f32 v97, v16, v99, -v22
	v_mul_f32_e32 v100, v16, v100
	s_waitcnt lgkmcnt(0)
	v_mul_f32_e32 v16, v18, v102
	v_fmac_f32_e32 v100, v20, v99
	v_fma_f32 v99, v14, v101, -v16
	v_mul_f32_e32 v102, v14, v102
	s_waitcnt vmcnt(0)
	v_mul_f32_e32 v14, v21, v43
	v_fmac_f32_e32 v102, v18, v101
	v_fma_f32 v101, v17, v42, -v14
	v_mul_f32_e32 v14, v19, v45
	v_fma_f32 v104, v15, v44, -v14
	v_mul_f32_e32 v123, v15, v45
	v_mul_u32_u24_e32 v14, 0x168, v30
	v_lshlrev_b32_sdwa v15, v52, v31 dst_sel:DWORD dst_unused:UNUSED_PAD src0_sel:DWORD src1_sel:BYTE_0
	v_add3_u32 v124, 0, v14, v15
	v_add_f32_e32 v15, v112, v116
	v_add_f32_e32 v14, v12, v112
	v_fma_f32 v12, -0.5, v15, v12
	v_sub_f32_e32 v15, v115, v69
	v_mov_b32_e32 v16, v12
	v_mul_f32_e32 v103, v17, v43
	v_add_f32_e32 v14, v14, v116
	v_fmac_f32_e32 v16, 0x3f5db3d7, v15
	v_fmac_f32_e32 v12, 0xbf5db3d7, v15
	v_add_f32_e32 v15, v120, v122
	v_fmac_f32_e32 v103, v21, v42
	v_fmac_f32_e32 v123, v19, v44
	ds_read2_b32 v[42:43], v1 offset1:81
	ds_read2_b32 v[44:45], v1 offset0:162 offset1:243
	ds_read2_b32 v[46:47], v76 offset0:68 offset1:149
	;; [unrolled: 1-line block ×4, first 2 shown]
	s_waitcnt lgkmcnt(0)
	s_barrier
	ds_write2_b32 v124, v14, v16 offset1:30
	v_add_f32_e32 v14, v13, v120
	v_fmac_f32_e32 v13, -0.5, v15
	ds_write_b32 v124, v12 offset:240
	v_mul_u32_u24_e32 v12, 0x168, v28
	v_lshlrev_b32_sdwa v15, v52, v29 dst_sel:DWORD dst_unused:UNUSED_PAD src0_sel:DWORD src1_sel:BYTE_0
	v_add3_u32 v125, 0, v12, v15
	v_add_f32_e32 v12, v14, v122
	v_sub_f32_e32 v14, v121, v70
	v_mov_b32_e32 v15, v13
	v_fmac_f32_e32 v15, 0x3f5db3d7, v14
	v_fmac_f32_e32 v13, 0xbf5db3d7, v14
	ds_write2_b32 v125, v12, v15 offset1:30
	ds_write_b32 v125, v13 offset:240
	v_mul_u32_u24_e32 v12, 0x168, v32
	v_lshlrev_b32_sdwa v13, v52, v33 dst_sel:DWORD dst_unused:UNUSED_PAD src0_sel:DWORD src1_sel:BYTE_0
	v_add3_u32 v126, 0, v12, v13
	v_add_f32_e32 v13, v106, v53
	v_add_f32_e32 v12, v10, v106
	v_fma_f32 v10, -0.5, v13, v10
	v_sub_f32_e32 v13, v54, v56
	v_mov_b32_e32 v14, v10
	v_add_f32_e32 v12, v12, v53
	v_fmac_f32_e32 v14, 0x3f5db3d7, v13
	v_fmac_f32_e32 v10, 0xbf5db3d7, v13
	v_add_f32_e32 v13, v55, v57
	ds_write2_b32 v126, v12, v14 offset1:30
	v_add_f32_e32 v12, v11, v55
	v_fmac_f32_e32 v11, -0.5, v13
	ds_write_b32 v126, v10 offset:240
	v_mul_u32_u24_e32 v10, 0x168, v34
	v_lshlrev_b32_e32 v13, 2, v35
	v_add3_u32 v127, 0, v10, v13
	v_add_f32_e32 v10, v12, v57
	v_sub_f32_e32 v12, v58, v60
	v_mov_b32_e32 v13, v11
	v_fmac_f32_e32 v13, 0x3f5db3d7, v12
	v_fmac_f32_e32 v11, 0xbf5db3d7, v12
	ds_write2_b32 v127, v10, v13 offset1:30
	ds_write_b32 v127, v11 offset:240
	v_mul_u32_u24_e32 v10, 0x168, v71
	v_lshlrev_b32_e32 v11, 2, v107
	v_add3_u32 v71, 0, v10, v11
	v_add_f32_e32 v11, v59, v61
	v_add_f32_e32 v10, v8, v59
	v_fma_f32 v8, -0.5, v11, v8
	v_sub_f32_e32 v11, v62, v64
	v_mov_b32_e32 v12, v8
	v_add_f32_e32 v10, v10, v61
	v_fmac_f32_e32 v12, 0x3f5db3d7, v11
	v_fmac_f32_e32 v8, 0xbf5db3d7, v11
	v_add_f32_e32 v11, v63, v65
	ds_write2_b32 v71, v10, v12 offset1:30
	v_add_f32_e32 v10, v9, v63
	v_fmac_f32_e32 v9, -0.5, v11
	ds_write_b32 v71, v8 offset:240
	v_mul_u32_u24_e32 v8, 0x168, v108
	v_lshlrev_b32_e32 v11, 2, v109
	v_add3_u32 v107, 0, v8, v11
	v_add_f32_e32 v8, v10, v65
	v_sub_f32_e32 v10, v66, v68
	v_mov_b32_e32 v11, v9
	v_fmac_f32_e32 v11, 0x3f5db3d7, v10
	v_fmac_f32_e32 v9, 0xbf5db3d7, v10
	ds_write2_b32 v107, v8, v11 offset1:30
	ds_write_b32 v107, v9 offset:240
	v_mul_u32_u24_e32 v8, 0x168, v110
	v_lshlrev_b32_e32 v9, 2, v111
	v_add3_u32 v108, 0, v8, v9
	v_add_f32_e32 v9, v67, v91
	v_add_f32_e32 v8, v6, v67
	v_fma_f32 v6, -0.5, v9, v6
	v_sub_f32_e32 v9, v92, v94
	v_mov_b32_e32 v10, v6
	v_add_f32_e32 v8, v8, v91
	v_fmac_f32_e32 v10, 0x3f5db3d7, v9
	v_fmac_f32_e32 v6, 0xbf5db3d7, v9
	v_add_f32_e32 v9, v93, v95
	ds_write2_b32 v108, v8, v10 offset1:30
	v_add_f32_e32 v8, v7, v93
	v_fmac_f32_e32 v7, -0.5, v9
	ds_write_b32 v108, v6 offset:240
	v_mul_u32_u24_e32 v6, 0x168, v113
	v_lshlrev_b32_e32 v9, 2, v114
	v_add3_u32 v6, 0, v6, v9
	v_sub_f32_e32 v9, v96, v98
	v_mov_b32_e32 v10, v7
	v_add_f32_e32 v8, v8, v95
	v_fmac_f32_e32 v10, 0x3f5db3d7, v9
	v_fmac_f32_e32 v7, 0xbf5db3d7, v9
	ds_write2_b32 v6, v8, v10 offset1:30
	ds_write_b32 v6, v7 offset:240
	v_mul_u32_u24_e32 v7, 0x168, v117
	v_lshlrev_b32_e32 v8, 2, v118
	v_add_f32_e32 v9, v97, v99
	v_add3_u32 v7, 0, v7, v8
	v_add_f32_e32 v8, v4, v97
	v_fma_f32 v4, -0.5, v9, v4
	v_sub_f32_e32 v9, v100, v102
	v_mov_b32_e32 v10, v4
	v_add_f32_e32 v8, v8, v99
	v_fmac_f32_e32 v10, 0x3f5db3d7, v9
	v_fmac_f32_e32 v4, 0xbf5db3d7, v9
	v_add_f32_e32 v9, v101, v104
	ds_write2_b32 v7, v8, v10 offset1:30
	v_add_f32_e32 v8, v5, v101
	v_fmac_f32_e32 v5, -0.5, v9
	ds_write_b32 v7, v4 offset:240
	v_mul_u32_u24_e32 v4, 0x168, v105
	v_lshlrev_b32_e32 v9, 2, v119
	v_add3_u32 v4, 0, v4, v9
	v_sub_f32_e32 v9, v103, v123
	v_mov_b32_e32 v10, v5
	v_add_f32_e32 v8, v8, v104
	v_fmac_f32_e32 v10, 0x3f5db3d7, v9
	v_fmac_f32_e32 v5, 0xbf5db3d7, v9
	ds_write2_b32 v4, v8, v10 offset1:30
	ds_write_b32 v4, v5 offset:240
	v_add_f32_e32 v5, v42, v115
	v_add_f32_e32 v8, v115, v69
	;; [unrolled: 1-line block ×3, first 2 shown]
	v_sub_f32_e32 v69, v112, v116
	v_fma_f32 v42, -0.5, v8, v42
	v_mov_b32_e32 v105, v42
	v_fmac_f32_e32 v42, 0x3f5db3d7, v69
	v_fmac_f32_e32 v105, 0xbf5db3d7, v69
	s_waitcnt lgkmcnt(0)
	s_barrier
	ds_read2_b32 v[16:17], v1 offset1:81
	ds_read2_b32 v[36:37], v72 offset0:42 offset1:123
	ds_read2_b32 v[34:35], v73 offset0:84 offset1:165
	;; [unrolled: 1-line block ×14, first 2 shown]
	s_waitcnt lgkmcnt(0)
	s_barrier
	ds_write_b32 v124, v42 offset:240
	v_add_f32_e32 v42, v121, v70
	ds_write2_b32 v124, v5, v105 offset1:30
	v_add_f32_e32 v5, v43, v121
	v_fmac_f32_e32 v43, -0.5, v42
	v_sub_f32_e32 v42, v120, v122
	v_mov_b32_e32 v69, v43
	v_fmac_f32_e32 v69, 0xbf5db3d7, v42
	v_fmac_f32_e32 v43, 0x3f5db3d7, v42
	v_add_f32_e32 v42, v54, v56
	v_add_f32_e32 v5, v5, v70
	ds_write_b32 v125, v43 offset:240
	v_sub_f32_e32 v43, v106, v53
	v_fma_f32 v42, -0.5, v42, v44
	ds_write2_b32 v125, v5, v69 offset1:30
	v_add_f32_e32 v5, v44, v54
	v_mov_b32_e32 v44, v42
	v_fmac_f32_e32 v42, 0x3f5db3d7, v43
	v_add_f32_e32 v5, v5, v56
	v_fmac_f32_e32 v44, 0xbf5db3d7, v43
	ds_write_b32 v126, v42 offset:240
	v_add_f32_e32 v42, v58, v60
	ds_write2_b32 v126, v5, v44 offset1:30
	v_add_f32_e32 v5, v45, v58
	v_fmac_f32_e32 v45, -0.5, v42
	v_sub_f32_e32 v42, v55, v57
	v_mov_b32_e32 v43, v45
	v_add_f32_e32 v5, v5, v60
	v_fmac_f32_e32 v43, 0xbf5db3d7, v42
	v_fmac_f32_e32 v45, 0x3f5db3d7, v42
	v_add_f32_e32 v42, v62, v64
	ds_write2_b32 v127, v5, v43 offset1:30
	v_sub_f32_e32 v43, v59, v61
	v_fma_f32 v42, -0.5, v42, v46
	v_add_f32_e32 v5, v46, v62
	v_mov_b32_e32 v44, v42
	v_fmac_f32_e32 v42, 0x3f5db3d7, v43
	ds_write_b32 v127, v45 offset:240
	v_add_f32_e32 v5, v5, v64
	v_fmac_f32_e32 v44, 0xbf5db3d7, v43
	ds_write_b32 v71, v42 offset:240
	v_add_f32_e32 v42, v66, v68
	ds_write2_b32 v71, v5, v44 offset1:30
	v_add_f32_e32 v5, v47, v66
	v_fmac_f32_e32 v47, -0.5, v42
	v_add_f32_e32 v44, v92, v94
	v_sub_f32_e32 v42, v63, v65
	v_mov_b32_e32 v43, v47
	v_fma_f32 v44, -0.5, v44, v48
	v_fmac_f32_e32 v43, 0xbf5db3d7, v42
	v_fmac_f32_e32 v47, 0x3f5db3d7, v42
	v_add_f32_e32 v42, v48, v92
	v_sub_f32_e32 v45, v67, v91
	v_mov_b32_e32 v46, v44
	v_add_f32_e32 v48, v96, v98
	v_fmac_f32_e32 v46, 0xbf5db3d7, v45
	v_fmac_f32_e32 v44, 0x3f5db3d7, v45
	v_add_f32_e32 v45, v49, v96
	v_fmac_f32_e32 v49, -0.5, v48
	v_sub_f32_e32 v48, v93, v95
	v_mov_b32_e32 v53, v49
	v_add_f32_e32 v54, v100, v102
	v_fmac_f32_e32 v53, 0xbf5db3d7, v48
	v_fmac_f32_e32 v49, 0x3f5db3d7, v48
	v_add_f32_e32 v48, v50, v100
	v_fma_f32 v50, -0.5, v54, v50
	v_sub_f32_e32 v55, v97, v99
	v_mov_b32_e32 v54, v50
	v_add_f32_e32 v56, v103, v123
	v_fmac_f32_e32 v54, 0xbf5db3d7, v55
	v_fmac_f32_e32 v50, 0x3f5db3d7, v55
	v_add_f32_e32 v55, v51, v103
	v_fmac_f32_e32 v51, -0.5, v56
	v_add_f32_e32 v5, v5, v68
	v_sub_f32_e32 v56, v101, v104
	v_mov_b32_e32 v57, v51
	v_add_f32_e32 v42, v42, v94
	v_add_f32_e32 v45, v45, v98
	;; [unrolled: 1-line block ×4, first 2 shown]
	v_fmac_f32_e32 v57, 0xbf5db3d7, v56
	v_fmac_f32_e32 v51, 0x3f5db3d7, v56
	ds_write2_b32 v107, v5, v43 offset1:30
	ds_write_b32 v107, v47 offset:240
	ds_write2_b32 v108, v42, v46 offset1:30
	ds_write_b32 v108, v44 offset:240
	;; [unrolled: 2-line block ×5, first 2 shown]
	v_lshlrev_b32_e32 v4, 1, v0
	v_mov_b32_e32 v5, 0
	v_lshlrev_b64 v[6:7], 3, v[4:5]
	v_mov_b32_e32 v42, s9
	v_add_co_u32_e64 v6, s[0:1], s8, v6
	v_addc_co_u32_e64 v7, s[0:1], v42, v7, s[0:1]
	s_waitcnt lgkmcnt(0)
	s_barrier
	global_load_dwordx4 v[48:51], v[6:7], off offset:640
	v_add_u32_e32 v43, -9, v0
	v_cmp_gt_u32_e64 s[0:1], 9, v0
	v_cndmask_b32_e64 v43, v43, v41, s[0:1]
	v_lshlrev_b32_e32 v44, 1, v43
	v_mov_b32_e32 v45, v5
	v_lshlrev_b64 v[44:45], 3, v[44:45]
	v_add_co_u32_e64 v44, s[0:1], s8, v44
	v_addc_co_u32_e64 v45, s[0:1], v42, v45, s[0:1]
	global_load_dwordx4 v[53:56], v[44:45], off offset:640
	s_movk_i32 s0, 0xb7
	v_mul_lo_u16_sdwa v44, v40, s0 dst_sel:DWORD dst_unused:UNUSED_PAD src0_sel:BYTE_0 src1_sel:DWORD
	s_movk_i32 s0, 0x2d83
	v_mul_u32_u24_sdwa v65, v89, s0 dst_sel:DWORD dst_unused:UNUSED_PAD src0_sel:WORD_0 src1_sel:DWORD
	v_lshrrev_b16_e32 v44, 14, v44
	v_lshrrev_b32_e32 v71, 20, v65
	v_mul_lo_u16_e32 v45, 0x5a, v44
	v_mul_lo_u16_e32 v65, 0x5a, v71
	v_sub_u16_e32 v45, v40, v45
	v_sub_u16_e32 v108, v89, v65
	v_lshlrev_b32_sdwa v46, v90, v45 dst_sel:DWORD dst_unused:UNUSED_PAD src0_sel:DWORD src1_sel:BYTE_0
	v_lshlrev_b32_e32 v65, 4, v108
	global_load_dwordx4 v[57:60], v46, s[8:9] offset:640
	v_mul_u32_u24_sdwa v69, v82, s0 dst_sel:DWORD dst_unused:UNUSED_PAD src0_sel:WORD_0 src1_sel:DWORD
	global_load_dwordx4 v[65:68], v65, s[8:9] offset:640
	v_mul_u32_u24_sdwa v46, v88, s0 dst_sel:DWORD dst_unused:UNUSED_PAD src0_sel:WORD_0 src1_sel:DWORD
	v_lshrrev_b32_e32 v46, 20, v46
	v_mul_lo_u16_e32 v47, 0x5a, v46
	v_sub_u16_e32 v47, v88, v47
	v_lshlrev_b32_e32 v61, 4, v47
	global_load_dwordx4 v[61:64], v61, s[8:9] offset:640
	v_lshrrev_b32_e32 v109, 20, v69
	v_mul_lo_u16_e32 v69, 0x5a, v109
	v_sub_u16_e32 v110, v82, v69
	v_lshlrev_b32_e32 v69, 4, v110
	global_load_dwordx4 v[90:93], v69, s[8:9] offset:640
	ds_read2_b32 v[69:70], v72 offset0:42 offset1:123
	ds_read2_b32 v[106:107], v73 offset0:84 offset1:165
	v_mul_u32_u24_sdwa v94, v83, s0 dst_sel:DWORD dst_unused:UNUSED_PAD src0_sel:WORD_0 src1_sel:DWORD
	v_lshrrev_b32_e32 v111, 20, v94
	v_mul_lo_u16_e32 v94, 0x5a, v111
	v_sub_u16_e32 v112, v83, v94
	v_lshlrev_b32_e32 v94, 4, v112
	global_load_dwordx4 v[94:97], v94, s[8:9] offset:640
	s_waitcnt vmcnt(6) lgkmcnt(1)
	v_mul_f32_e32 v98, v69, v49
	v_fma_f32 v113, v36, v48, -v98
	v_mul_u32_u24_sdwa v98, v39, s0 dst_sel:DWORD dst_unused:UNUSED_PAD src0_sel:WORD_0 src1_sel:DWORD
	v_lshrrev_b32_e32 v114, 20, v98
	v_mul_lo_u16_e32 v98, 0x5a, v114
	v_sub_u16_e32 v115, v39, v98
	v_lshlrev_b32_e32 v98, 4, v115
	global_load_dwordx4 v[98:101], v98, s[8:9] offset:640
	v_mul_f32_e32 v116, v36, v49
	s_waitcnt lgkmcnt(0)
	v_mul_f32_e32 v36, v106, v51
	v_fmac_f32_e32 v116, v69, v48
	v_fma_f32 v69, v34, v50, -v36
	v_mul_u32_u24_sdwa v36, v84, s0 dst_sel:DWORD dst_unused:UNUSED_PAD src0_sel:WORD_0 src1_sel:DWORD
	v_lshrrev_b32_e32 v117, 20, v36
	v_mul_lo_u16_e32 v36, 0x5a, v117
	v_mul_f32_e32 v119, v34, v51
	v_mul_u32_u24_sdwa v34, v85, s0 dst_sel:DWORD dst_unused:UNUSED_PAD src0_sel:WORD_0 src1_sel:DWORD
	v_sub_u16_e32 v118, v84, v36
	v_lshrrev_b32_e32 v34, 20, v34
	v_lshlrev_b32_e32 v36, 4, v118
	v_mul_lo_u16_e32 v34, 0x5a, v34
	global_load_dwordx4 v[102:105], v36, s[8:9] offset:640
	v_fmac_f32_e32 v119, v106, v50
	v_sub_u16_e32 v106, v85, v34
	v_lshlrev_b32_e32 v34, 4, v106
	global_load_dwordx4 v[48:51], v34, s[8:9] offset:640
	s_waitcnt vmcnt(8)
	v_mul_f32_e32 v34, v70, v54
	v_fma_f32 v120, v37, v53, -v34
	v_mul_f32_e32 v54, v37, v54
	v_mul_f32_e32 v34, v107, v56
	ds_read2_b32 v[36:37], v75 offset0:76 offset1:157
	v_fmac_f32_e32 v54, v70, v53
	v_fma_f32 v53, v35, v55, -v34
	v_mul_f32_e32 v56, v35, v56
	ds_read2_b32 v[34:35], v74 offset0:118 offset1:199
	v_fmac_f32_e32 v56, v107, v55
	s_waitcnt vmcnt(7) lgkmcnt(1)
	v_mul_f32_e32 v55, v36, v58
	v_fma_f32 v55, v32, v57, -v55
	v_mul_f32_e32 v58, v32, v58
	s_waitcnt lgkmcnt(0)
	v_mul_f32_e32 v32, v34, v60
	v_fmac_f32_e32 v58, v36, v57
	v_fma_f32 v57, v30, v59, -v32
	v_mul_f32_e32 v60, v30, v60
	s_waitcnt vmcnt(5)
	v_mul_f32_e32 v30, v37, v62
	v_fmac_f32_e32 v60, v34, v59
	v_fma_f32 v59, v33, v61, -v30
	v_mul_f32_e32 v62, v33, v62
	v_mul_f32_e32 v30, v35, v64
	ds_read2_b32 v[32:33], v77 offset0:110 offset1:191
	v_fmac_f32_e32 v62, v37, v61
	v_fma_f32 v37, v31, v63, -v30
	v_mul_f32_e32 v61, v31, v64
	ds_read2_b32 v[30:31], v78 offset0:152 offset1:233
	s_waitcnt lgkmcnt(1)
	v_mul_f32_e32 v34, v32, v66
	v_fmac_f32_e32 v61, v35, v63
	v_fma_f32 v63, v28, v65, -v34
	v_mul_f32_e32 v64, v28, v66
	s_waitcnt lgkmcnt(0)
	v_mul_f32_e32 v28, v30, v68
	v_fmac_f32_e32 v64, v32, v65
	v_fma_f32 v65, v26, v67, -v28
	v_mul_f32_e32 v66, v26, v68
	s_waitcnt vmcnt(4)
	v_mul_f32_e32 v26, v33, v91
	v_fmac_f32_e32 v66, v30, v67
	v_fma_f32 v67, v29, v90, -v26
	v_mul_f32_e32 v68, v29, v91
	v_mul_f32_e32 v26, v31, v93
	ds_read2_b32 v[28:29], v80 offset0:16 offset1:97
	v_fmac_f32_e32 v68, v33, v90
	v_fma_f32 v70, v27, v92, -v26
	v_mul_f32_e32 v90, v27, v93
	ds_read2_b32 v[26:27], v81 offset0:58 offset1:139
	s_waitcnt vmcnt(3) lgkmcnt(1)
	v_mul_f32_e32 v30, v28, v95
	v_fmac_f32_e32 v90, v31, v92
	v_fma_f32 v91, v24, v94, -v30
	v_mul_f32_e32 v92, v24, v95
	s_waitcnt lgkmcnt(0)
	v_mul_f32_e32 v24, v26, v97
	v_fmac_f32_e32 v92, v28, v94
	v_fma_f32 v93, v22, v96, -v24
	v_mul_f32_e32 v94, v22, v97
	v_fmac_f32_e32 v94, v26, v96
	v_cmp_lt_u32_e64 s[0:1], 8, v0
	s_waitcnt vmcnt(2)
	v_mul_f32_e32 v22, v29, v99
	v_fma_f32 v95, v25, v98, -v22
	v_mul_f32_e32 v96, v25, v99
	v_mul_f32_e32 v22, v27, v101
	ds_read2_b32 v[24:25], v86 offset0:50 offset1:131
	v_fma_f32 v97, v23, v100, -v22
	v_mul_f32_e32 v121, v23, v101
	ds_read2_b32 v[22:23], v87 offset0:92 offset1:173
	v_fmac_f32_e32 v96, v29, v98
	v_fmac_f32_e32 v121, v27, v100
	s_waitcnt vmcnt(1) lgkmcnt(1)
	v_mul_f32_e32 v26, v24, v103
	v_fma_f32 v122, v20, v102, -v26
	v_mul_f32_e32 v123, v20, v103
	s_waitcnt lgkmcnt(0)
	v_mul_f32_e32 v20, v22, v105
	v_fma_f32 v124, v18, v104, -v20
	v_mul_f32_e32 v125, v18, v105
	s_waitcnt vmcnt(0)
	v_mul_f32_e32 v18, v25, v49
	v_fma_f32 v126, v21, v48, -v18
	v_mul_f32_e32 v18, v23, v51
	v_fma_f32 v128, v19, v50, -v18
	v_mul_f32_e32 v51, v19, v51
	v_add_f32_e32 v19, v113, v69
	v_add_f32_e32 v18, v16, v113
	v_fma_f32 v16, -0.5, v19, v16
	v_sub_f32_e32 v19, v116, v119
	v_mul_f32_e32 v127, v21, v49
	v_mov_b32_e32 v20, v16
	v_fmac_f32_e32 v16, 0xbf5db3d7, v19
	v_fmac_f32_e32 v127, v25, v48
	v_add_f32_e32 v18, v18, v69
	v_fmac_f32_e32 v20, 0x3f5db3d7, v19
	ds_read2_b32 v[29:30], v1 offset1:81
	ds_read2_b32 v[31:32], v1 offset0:162 offset1:243
	ds_read2_b32 v[33:34], v76 offset0:68 offset1:149
	;; [unrolled: 1-line block ×4, first 2 shown]
	s_waitcnt lgkmcnt(0)
	s_barrier
	v_add_f32_e32 v19, v120, v53
	ds_write_b32 v1, v16 offset:720
	v_mov_b32_e32 v16, 0x438
	ds_write2_b32 v1, v18, v20 offset1:90
	v_add_f32_e32 v18, v17, v120
	v_fmac_f32_e32 v17, -0.5, v19
	v_cndmask_b32_e64 v16, 0, v16, s[0:1]
	v_lshlrev_b32_e32 v19, 2, v43
	v_add3_u32 v43, 0, v16, v19
	v_add_f32_e32 v16, v18, v53
	v_sub_f32_e32 v18, v54, v56
	v_mov_b32_e32 v19, v17
	v_fmac_f32_e32 v19, 0x3f5db3d7, v18
	v_fmac_f32_e32 v17, 0xbf5db3d7, v18
	ds_write2_b32 v43, v16, v19 offset1:90
	ds_write_b32 v43, v17 offset:720
	v_lshlrev_b32_sdwa v16, v52, v45 dst_sel:DWORD dst_unused:UNUSED_PAD src0_sel:DWORD src1_sel:BYTE_0
	v_mul_u32_u24_e32 v17, 0x438, v44
	v_add3_u32 v44, 0, v17, v16
	v_add_f32_e32 v17, v55, v57
	v_add_f32_e32 v16, v14, v55
	v_fma_f32 v14, -0.5, v17, v14
	v_sub_f32_e32 v17, v58, v60
	v_mov_b32_e32 v18, v14
	v_add_f32_e32 v16, v16, v57
	v_fmac_f32_e32 v18, 0x3f5db3d7, v17
	v_fmac_f32_e32 v14, 0xbf5db3d7, v17
	v_add_f32_e32 v17, v59, v37
	ds_write2_b32 v44, v16, v18 offset1:90
	v_add_f32_e32 v16, v15, v59
	v_fmac_f32_e32 v15, -0.5, v17
	ds_write_b32 v44, v14 offset:720
	v_mul_u32_u24_e32 v14, 0x438, v46
	v_lshlrev_b32_e32 v17, 2, v47
	v_add3_u32 v45, 0, v14, v17
	v_add_f32_e32 v14, v16, v37
	v_sub_f32_e32 v16, v62, v61
	v_mov_b32_e32 v17, v15
	v_fmac_f32_e32 v17, 0x3f5db3d7, v16
	v_fmac_f32_e32 v15, 0xbf5db3d7, v16
	ds_write2_b32 v45, v14, v17 offset1:90
	ds_write_b32 v45, v15 offset:720
	v_mul_u32_u24_e32 v14, 0x438, v71
	v_lshlrev_b32_e32 v15, 2, v108
	v_add3_u32 v46, 0, v14, v15
	v_add_f32_e32 v15, v63, v65
	v_add_f32_e32 v14, v12, v63
	v_fma_f32 v12, -0.5, v15, v12
	v_sub_f32_e32 v15, v64, v66
	v_mov_b32_e32 v16, v12
	v_add_f32_e32 v14, v14, v65
	v_fmac_f32_e32 v16, 0x3f5db3d7, v15
	v_fmac_f32_e32 v12, 0xbf5db3d7, v15
	v_add_f32_e32 v15, v67, v70
	ds_write2_b32 v46, v14, v16 offset1:90
	v_add_f32_e32 v14, v13, v67
	v_fmac_f32_e32 v13, -0.5, v15
	ds_write_b32 v46, v12 offset:720
	v_mul_u32_u24_e32 v12, 0x438, v109
	v_lshlrev_b32_e32 v15, 2, v110
	v_add3_u32 v47, 0, v12, v15
	v_add_f32_e32 v12, v14, v70
	v_sub_f32_e32 v14, v68, v90
	v_mov_b32_e32 v15, v13
	v_fmac_f32_e32 v15, 0x3f5db3d7, v14
	v_fmac_f32_e32 v13, 0xbf5db3d7, v14
	ds_write2_b32 v47, v12, v15 offset1:90
	ds_write_b32 v47, v13 offset:720
	v_mul_u32_u24_e32 v12, 0x438, v111
	v_lshlrev_b32_e32 v13, 2, v112
	v_fmac_f32_e32 v51, v23, v50
	v_add3_u32 v50, 0, v12, v13
	v_add_f32_e32 v13, v91, v93
	v_add_f32_e32 v12, v10, v91
	v_fma_f32 v10, -0.5, v13, v10
	v_sub_f32_e32 v13, v92, v94
	v_mov_b32_e32 v14, v10
	v_add_f32_e32 v12, v12, v93
	v_fmac_f32_e32 v14, 0x3f5db3d7, v13
	v_fmac_f32_e32 v10, 0xbf5db3d7, v13
	v_add_f32_e32 v13, v95, v97
	ds_write2_b32 v50, v12, v14 offset1:90
	v_add_f32_e32 v12, v11, v95
	v_fmac_f32_e32 v11, -0.5, v13
	ds_write_b32 v50, v10 offset:720
	v_mul_u32_u24_e32 v10, 0x438, v114
	v_lshlrev_b32_e32 v13, 2, v115
	v_add3_u32 v10, 0, v10, v13
	v_sub_f32_e32 v13, v96, v121
	v_mov_b32_e32 v14, v11
	v_add_f32_e32 v12, v12, v97
	v_fmac_f32_e32 v14, 0x3f5db3d7, v13
	v_fmac_f32_e32 v11, 0xbf5db3d7, v13
	ds_write2_b32 v10, v12, v14 offset1:90
	ds_write_b32 v10, v11 offset:720
	v_mul_u32_u24_e32 v11, 0x438, v117
	v_lshlrev_b32_e32 v12, 2, v118
	v_add_f32_e32 v13, v122, v124
	v_fmac_f32_e32 v123, v24, v102
	v_fmac_f32_e32 v125, v22, v104
	v_add3_u32 v11, 0, v11, v12
	v_add_f32_e32 v12, v8, v122
	v_fma_f32 v8, -0.5, v13, v8
	v_sub_f32_e32 v13, v123, v125
	v_mov_b32_e32 v14, v8
	v_add_f32_e32 v12, v12, v124
	v_fmac_f32_e32 v14, 0x3f5db3d7, v13
	ds_write2_b32 v11, v12, v14 offset1:90
	v_fmac_f32_e32 v8, 0xbf5db3d7, v13
	v_add_f32_e32 v12, v9, v126
	v_add_f32_e32 v13, v126, v128
	v_fmac_f32_e32 v9, -0.5, v13
	ds_write_b32 v11, v8 offset:720
	v_add_f32_e32 v8, v12, v128
	v_sub_f32_e32 v12, v127, v51
	v_mov_b32_e32 v13, v9
	v_lshl_add_u32 v52, v106, 2, 0
	v_fmac_f32_e32 v9, 0xbf5db3d7, v12
	ds_write_b32 v52, v9 offset:9360
	v_add_f32_e32 v9, v116, v119
	v_fmac_f32_e32 v13, 0x3f5db3d7, v12
	v_add_u32_e32 v71, 0x2000, v52
	v_fma_f32 v9, -0.5, v9, v29
	ds_write2_b32 v71, v8, v13 offset0:112 offset1:202
	v_add_f32_e32 v8, v29, v116
	v_sub_f32_e32 v69, v113, v69
	v_mov_b32_e32 v110, v9
	v_add_f32_e32 v8, v8, v119
	v_fmac_f32_e32 v110, 0xbf5db3d7, v69
	s_waitcnt lgkmcnt(0)
	s_barrier
	ds_read2_b32 v[20:21], v1 offset1:81
	ds_read2_b32 v[98:99], v72 offset0:42 offset1:123
	ds_read2_b32 v[100:101], v73 offset0:84 offset1:165
	;; [unrolled: 1-line block ×14, first 2 shown]
	s_waitcnt lgkmcnt(0)
	s_barrier
	ds_write2_b32 v1, v8, v110 offset1:90
	v_add_f32_e32 v8, v30, v54
	v_add_f32_e32 v54, v54, v56
	v_fmac_f32_e32 v9, 0x3f5db3d7, v69
	v_fmac_f32_e32 v30, -0.5, v54
	v_sub_f32_e32 v53, v120, v53
	ds_write_b32 v1, v9 offset:720
	v_mov_b32_e32 v9, v30
	v_add_f32_e32 v8, v8, v56
	v_fmac_f32_e32 v9, 0xbf5db3d7, v53
	ds_write2_b32 v43, v8, v9 offset1:90
	v_fmac_f32_e32 v30, 0x3f5db3d7, v53
	v_add_f32_e32 v9, v58, v60
	ds_write_b32 v43, v30 offset:720
	v_sub_f32_e32 v30, v55, v57
	v_fma_f32 v9, -0.5, v9, v31
	v_add_f32_e32 v8, v31, v58
	v_mov_b32_e32 v31, v9
	v_fmac_f32_e32 v9, 0x3f5db3d7, v30
	v_add_f32_e32 v8, v8, v60
	v_fmac_f32_e32 v31, 0xbf5db3d7, v30
	ds_write_b32 v44, v9 offset:720
	v_add_f32_e32 v9, v62, v61
	ds_write2_b32 v44, v8, v31 offset1:90
	v_add_f32_e32 v8, v32, v62
	v_fmac_f32_e32 v32, -0.5, v9
	v_sub_f32_e32 v9, v59, v37
	v_mov_b32_e32 v30, v32
	v_add_f32_e32 v8, v8, v61
	v_fmac_f32_e32 v30, 0xbf5db3d7, v9
	v_fmac_f32_e32 v32, 0x3f5db3d7, v9
	v_add_f32_e32 v9, v64, v66
	ds_write2_b32 v45, v8, v30 offset1:90
	v_sub_f32_e32 v30, v63, v65
	v_fma_f32 v9, -0.5, v9, v33
	v_add_f32_e32 v8, v33, v64
	v_mov_b32_e32 v31, v9
	v_fmac_f32_e32 v9, 0x3f5db3d7, v30
	ds_write_b32 v45, v32 offset:720
	v_add_f32_e32 v8, v8, v66
	v_fmac_f32_e32 v31, 0xbf5db3d7, v30
	ds_write_b32 v46, v9 offset:720
	v_add_f32_e32 v9, v68, v90
	ds_write2_b32 v46, v8, v31 offset1:90
	v_add_f32_e32 v8, v34, v68
	v_fmac_f32_e32 v34, -0.5, v9
	v_sub_f32_e32 v9, v67, v70
	v_mov_b32_e32 v30, v34
	v_fmac_f32_e32 v30, 0xbf5db3d7, v9
	v_fmac_f32_e32 v34, 0x3f5db3d7, v9
	v_add_f32_e32 v9, v92, v94
	v_add_f32_e32 v8, v8, v90
	ds_write_b32 v47, v34 offset:720
	v_fma_f32 v9, -0.5, v9, v35
	v_add_f32_e32 v34, v123, v125
	ds_write2_b32 v47, v8, v30 offset1:90
	v_sub_f32_e32 v30, v91, v93
	v_mov_b32_e32 v31, v9
	v_add_f32_e32 v32, v96, v121
	v_fma_f32 v34, -0.5, v34, v48
	v_add_f32_e32 v8, v35, v92
	v_fmac_f32_e32 v31, 0xbf5db3d7, v30
	v_fmac_f32_e32 v9, 0x3f5db3d7, v30
	v_add_f32_e32 v30, v36, v96
	v_fmac_f32_e32 v36, -0.5, v32
	v_sub_f32_e32 v35, v122, v124
	v_mov_b32_e32 v37, v34
	v_add_f32_e32 v43, v127, v51
	v_sub_f32_e32 v32, v95, v97
	v_mov_b32_e32 v33, v36
	v_fmac_f32_e32 v37, 0xbf5db3d7, v35
	v_fmac_f32_e32 v34, 0x3f5db3d7, v35
	v_add_f32_e32 v35, v49, v127
	v_fmac_f32_e32 v49, -0.5, v43
	v_add_f32_e32 v8, v8, v94
	v_fmac_f32_e32 v33, 0xbf5db3d7, v32
	v_fmac_f32_e32 v36, 0x3f5db3d7, v32
	v_add_f32_e32 v32, v48, v123
	v_sub_f32_e32 v43, v126, v128
	v_mov_b32_e32 v44, v49
	v_add_f32_e32 v30, v30, v121
	v_add_f32_e32 v32, v32, v125
	;; [unrolled: 1-line block ×3, first 2 shown]
	v_fmac_f32_e32 v44, 0xbf5db3d7, v43
	v_fmac_f32_e32 v49, 0x3f5db3d7, v43
	ds_write2_b32 v50, v8, v31 offset1:90
	ds_write_b32 v50, v9 offset:720
	ds_write2_b32 v10, v30, v33 offset1:90
	ds_write_b32 v10, v36 offset:720
	;; [unrolled: 2-line block ×3, first 2 shown]
	ds_write2_b32 v71, v35, v44 offset0:112 offset1:202
	ds_write_b32 v52, v49 offset:9360
	v_lshlrev_b32_e32 v8, 1, v41
	v_mov_b32_e32 v9, v5
	v_lshlrev_b64 v[8:9], 3, v[8:9]
	v_lshlrev_b32_e32 v10, 1, v40
	v_mov_b32_e32 v11, v5
	v_add_co_u32_e64 v8, s[0:1], s8, v8
	v_lshlrev_b64 v[10:11], 3, v[10:11]
	v_addc_co_u32_e64 v9, s[0:1], v42, v9, s[0:1]
	s_waitcnt lgkmcnt(0)
	s_barrier
	global_load_dwordx4 v[31:34], v[6:7], off offset:2080
	global_load_dwordx4 v[43:46], v[8:9], off offset:2080
	v_add_co_u32_e64 v10, s[0:1], s8, v10
	v_addc_co_u32_e64 v11, s[0:1], v42, v11, s[0:1]
	v_subrev_u32_e32 v30, 27, v0
	v_cmp_gt_u32_e64 s[0:1], 27, v0
	v_cndmask_b32_e64 v30, v30, v88, s[0:1]
	v_lshlrev_b32_e32 v35, 1, v30
	v_mov_b32_e32 v36, v5
	v_lshlrev_b64 v[35:36], 3, v[35:36]
	global_load_dwordx4 v[47:50], v[10:11], off offset:2080
	v_add_co_u32_e64 v35, s[0:1], s8, v35
	v_addc_co_u32_e64 v36, s[0:1], v42, v36, s[0:1]
	global_load_dwordx4 v[51:54], v[35:36], off offset:2080
	v_add_u32_e32 v35, 0x6c, v4
	v_mov_b32_e32 v36, v5
	v_lshlrev_b64 v[35:36], 3, v[35:36]
	v_add_u32_e32 v4, 0x10e, v4
	v_add_co_u32_e64 v35, s[0:1], s8, v35
	v_addc_co_u32_e64 v36, s[0:1], v42, v36, s[0:1]
	global_load_dwordx4 v[55:58], v[35:36], off offset:2080
	v_lshlrev_b64 v[35:36], 3, v[4:5]
	ds_read2_b32 v[40:41], v73 offset0:84 offset1:165
	v_add_co_u32_e64 v35, s[0:1], s8, v35
	v_addc_co_u32_e64 v36, s[0:1], v42, v36, s[0:1]
	s_movk_i32 s0, 0x795d
	v_mul_u32_u24_sdwa v4, v83, s0 dst_sel:DWORD dst_unused:UNUSED_PAD src0_sel:WORD_0 src1_sel:DWORD
	v_mul_u32_u24_sdwa v37, v84, s0 dst_sel:DWORD dst_unused:UNUSED_PAD src0_sel:WORD_0 src1_sel:DWORD
	v_lshrrev_b32_e32 v4, 23, v4
	v_lshrrev_b32_e32 v37, 23, v37
	global_load_dwordx4 v[59:62], v[35:36], off offset:2080
	v_mul_lo_u16_e32 v35, 0x10e, v4
	v_mul_lo_u16_e32 v37, 0x10e, v37
	v_sub_u16_e32 v42, v83, v35
	v_sub_u16_e32 v110, v84, v37
	v_lshlrev_b32_e32 v35, 4, v42
	v_lshlrev_b32_e32 v37, 4, v110
	global_load_dwordx4 v[63:66], v35, s[8:9] offset:2080
	global_load_dwordx4 v[90:93], v37, s[8:9] offset:2080
	v_mul_u32_u24_sdwa v35, v39, s0 dst_sel:DWORD dst_unused:UNUSED_PAD src0_sel:WORD_0 src1_sel:DWORD
	v_lshrrev_b32_e32 v35, 23, v35
	v_mul_lo_u16_e32 v35, 0x10e, v35
	v_sub_u16_e32 v71, v39, v35
	v_lshlrev_b32_e32 v35, 4, v71
	global_load_dwordx4 v[67:70], v35, s[8:9] offset:2080
	v_mul_u32_u24_sdwa v94, v85, s0 dst_sel:DWORD dst_unused:UNUSED_PAD src0_sel:WORD_0 src1_sel:DWORD
	v_lshrrev_b32_e32 v94, 23, v94
	v_mul_lo_u16_e32 v94, 0x10e, v94
	v_sub_u16_e32 v111, v85, v94
	v_lshlrev_b32_e32 v94, 4, v111
	global_load_dwordx4 v[94:97], v94, s[8:9] offset:2080
	ds_read2_b32 v[35:36], v72 offset0:42 offset1:123
	v_cmp_lt_u32_e64 s[0:1], 26, v0
	v_mul_u32_u24_e32 v4, 0xca8, v4
	v_lshl_add_u32 v71, v71, 2, 0
	v_lshl_add_u32 v110, v110, 2, 0
	;; [unrolled: 1-line block ×3, first 2 shown]
	s_waitcnt vmcnt(9) lgkmcnt(0)
	v_mul_f32_e32 v37, v35, v32
	v_fma_f32 v112, v98, v31, -v37
	v_mul_f32_e32 v98, v98, v32
	v_fmac_f32_e32 v98, v35, v31
	v_mul_f32_e32 v31, v40, v34
	v_fma_f32 v35, v100, v33, -v31
	s_waitcnt vmcnt(8)
	v_mul_f32_e32 v31, v36, v44
	v_mul_f32_e32 v100, v100, v34
	v_fma_f32 v113, v99, v43, -v31
	ds_read2_b32 v[31:32], v75 offset0:76 offset1:157
	v_fmac_f32_e32 v100, v40, v33
	v_mul_f32_e32 v33, v41, v46
	v_fma_f32 v114, v101, v45, -v33
	ds_read2_b32 v[33:34], v74 offset0:118 offset1:199
	v_mul_f32_e32 v99, v99, v44
	v_fmac_f32_e32 v99, v36, v43
	s_waitcnt vmcnt(7) lgkmcnt(1)
	v_mul_f32_e32 v36, v31, v48
	v_fma_f32 v115, v102, v47, -v36
	v_mul_f32_e32 v102, v102, v48
	v_fmac_f32_e32 v102, v31, v47
	s_waitcnt lgkmcnt(0)
	v_mul_f32_e32 v31, v33, v50
	v_fma_f32 v116, v104, v49, -v31
	v_mul_f32_e32 v104, v104, v50
	s_waitcnt vmcnt(6)
	v_mul_f32_e32 v31, v32, v52
	v_fmac_f32_e32 v104, v33, v49
	v_fma_f32 v117, v103, v51, -v31
	v_mul_f32_e32 v103, v103, v52
	v_mul_f32_e32 v33, v34, v54
	v_fmac_f32_e32 v103, v32, v51
	ds_read2_b32 v[31:32], v77 offset0:110 offset1:191
	v_fma_f32 v118, v105, v53, -v33
	v_mul_f32_e32 v105, v105, v54
	v_fmac_f32_e32 v105, v34, v53
	ds_read2_b32 v[33:34], v78 offset0:152 offset1:233
	s_waitcnt vmcnt(5) lgkmcnt(1)
	v_mul_f32_e32 v36, v31, v56
	v_mul_f32_e32 v56, v106, v56
	v_fmac_f32_e32 v56, v31, v55
	v_fma_f32 v119, v106, v55, -v36
	s_waitcnt lgkmcnt(0)
	v_mul_f32_e32 v31, v33, v58
	v_fma_f32 v106, v108, v57, -v31
	v_mul_f32_e32 v58, v108, v58
	s_waitcnt vmcnt(4)
	v_mul_f32_e32 v31, v32, v60
	v_mul_f32_e32 v60, v107, v60
	v_fmac_f32_e32 v58, v33, v57
	v_fma_f32 v57, v107, v59, -v31
	v_fmac_f32_e32 v60, v32, v59
	v_mul_f32_e32 v33, v34, v62
	ds_read2_b32 v[31:32], v80 offset0:16 offset1:97
	v_mul_f32_e32 v62, v109, v62
	v_fma_f32 v59, v109, v61, -v33
	v_fmac_f32_e32 v62, v34, v61
	ds_read2_b32 v[33:34], v81 offset0:58 offset1:139
	s_waitcnt vmcnt(3) lgkmcnt(1)
	v_mul_f32_e32 v36, v31, v64
	v_fma_f32 v61, v28, v63, -v36
	v_mul_f32_e32 v64, v28, v64
	v_fmac_f32_e32 v64, v31, v63
	s_waitcnt lgkmcnt(0)
	v_mul_f32_e32 v28, v33, v66
	v_fma_f32 v31, v26, v65, -v28
	v_mul_f32_e32 v63, v26, v66
	s_waitcnt vmcnt(1)
	v_mul_f32_e32 v26, v32, v68
	v_fmac_f32_e32 v63, v33, v65
	v_fma_f32 v65, v29, v67, -v26
	v_mul_f32_e32 v66, v29, v68
	v_mul_f32_e32 v26, v34, v70
	ds_read2_b32 v[28:29], v86 offset0:50 offset1:131
	v_fmac_f32_e32 v66, v32, v67
	v_fma_f32 v67, v27, v69, -v26
	v_mul_f32_e32 v68, v27, v70
	ds_read2_b32 v[26:27], v87 offset0:92 offset1:173
	s_waitcnt lgkmcnt(1)
	v_mul_f32_e32 v32, v28, v91
	v_fmac_f32_e32 v68, v34, v69
	v_fma_f32 v69, v24, v90, -v32
	v_mul_f32_e32 v70, v24, v91
	s_waitcnt lgkmcnt(0)
	v_mul_f32_e32 v24, v26, v93
	v_fmac_f32_e32 v70, v28, v90
	v_fma_f32 v90, v22, v92, -v24
	v_mul_f32_e32 v91, v22, v93
	s_waitcnt vmcnt(0)
	v_mul_f32_e32 v22, v29, v95
	v_fmac_f32_e32 v91, v26, v92
	v_fma_f32 v92, v25, v94, -v22
	v_mul_f32_e32 v93, v25, v95
	v_mul_f32_e32 v22, v27, v97
	;; [unrolled: 1-line block ×3, first 2 shown]
	v_fmac_f32_e32 v93, v29, v94
	v_fma_f32 v94, v23, v96, -v22
	v_mul_f32_e32 v95, v23, v97
	v_add_f32_e32 v23, v113, v114
	v_fmac_f32_e32 v101, v41, v45
	v_add_f32_e32 v22, v21, v113
	v_fmac_f32_e32 v21, -0.5, v23
	v_add_f32_e32 v23, v112, v35
	v_fma_f32 v23, -0.5, v23, v20
	v_sub_f32_e32 v24, v98, v100
	v_sub_f32_e32 v26, v99, v101
	v_fmac_f32_e32 v95, v27, v96
	v_mov_b32_e32 v25, v23
	v_fmac_f32_e32 v23, 0xbf5db3d7, v24
	v_mov_b32_e32 v27, v21
	v_fmac_f32_e32 v21, 0xbf5db3d7, v26
	v_add_f32_e32 v20, v20, v112
	ds_read2_b32 v[36:37], v1 offset1:81
	ds_read2_b32 v[44:45], v1 offset0:162 offset1:243
	ds_read2_b32 v[46:47], v76 offset0:68 offset1:149
	;; [unrolled: 1-line block ×4, first 2 shown]
	s_waitcnt lgkmcnt(0)
	s_barrier
	ds_write2_b32 v38, v23, v21 offset0:28 offset1:109
	v_add_f32_e32 v20, v20, v35
	v_add_f32_e32 v21, v22, v114
	ds_write2_b32 v1, v20, v21 offset1:81
	v_add_f32_e32 v20, v18, v115
	v_fmac_f32_e32 v25, 0x3f5db3d7, v24
	v_add_f32_e32 v20, v20, v116
	v_add_u32_e32 v96, 0x200, v1
	ds_write2_b32 v96, v20, v25 offset0:34 offset1:142
	v_add_f32_e32 v20, v115, v116
	v_fma_f32 v18, -0.5, v20, v18
	v_sub_f32_e32 v20, v102, v104
	v_mov_b32_e32 v21, v18
	v_fmac_f32_e32 v27, 0x3f5db3d7, v26
	v_fmac_f32_e32 v21, 0x3f5db3d7, v20
	;; [unrolled: 1-line block ×3, first 2 shown]
	ds_write2_b32 v76, v27, v21 offset0:95 offset1:176
	v_add_f32_e32 v21, v117, v118
	ds_write_b32 v1, v18 offset:2808
	v_mov_b32_e32 v18, 0xca8
	v_add_f32_e32 v20, v19, v117
	v_fmac_f32_e32 v19, -0.5, v21
	v_cndmask_b32_e64 v18, 0, v18, s[0:1]
	v_lshlrev_b32_e32 v21, 2, v30
	v_add3_u32 v30, 0, v18, v21
	v_sub_f32_e32 v18, v103, v105
	v_mov_b32_e32 v21, v19
	v_fmac_f32_e32 v19, 0xbf5db3d7, v18
	ds_write_b32 v30, v19 offset:2160
	v_add_f32_e32 v19, v57, v59
	v_fmac_f32_e32 v21, 0x3f5db3d7, v18
	v_add_f32_e32 v18, v17, v57
	v_fmac_f32_e32 v17, -0.5, v19
	v_add_f32_e32 v19, v20, v118
	ds_write_b32 v30, v19
	ds_write_b32 v30, v21 offset:1080
	v_add_f32_e32 v19, v119, v106
	v_fma_f32 v19, -0.5, v19, v16
	v_sub_f32_e32 v20, v56, v58
	v_sub_f32_e32 v22, v60, v62
	v_lshl_add_u32 v24, v0, 2, 0
	v_mov_b32_e32 v21, v19
	v_fmac_f32_e32 v19, 0xbf5db3d7, v20
	v_mov_b32_e32 v23, v17
	v_fmac_f32_e32 v17, 0xbf5db3d7, v22
	v_add_u32_e32 v97, 0x1400, v24
	v_add_f32_e32 v16, v16, v119
	ds_write2_b32 v97, v19, v17 offset0:124 offset1:205
	v_add_f32_e32 v16, v16, v106
	v_add_f32_e32 v17, v18, v59
	v_add_u32_e32 v107, 0xc00, v24
	ds_write2_b32 v107, v16, v17 offset0:96 offset1:177
	v_add_f32_e32 v16, v61, v31
	v_fma_f32 v16, -0.5, v16, v14
	v_sub_f32_e32 v17, v64, v63
	v_mov_b32_e32 v18, v16
	v_add_f32_e32 v19, v65, v67
	v_fmac_f32_e32 v18, 0x3f5db3d7, v17
	v_fmac_f32_e32 v16, 0xbf5db3d7, v17
	v_add_f32_e32 v17, v15, v65
	v_fmac_f32_e32 v15, -0.5, v19
	v_lshlrev_b32_e32 v19, 2, v42
	v_add_f32_e32 v14, v14, v61
	v_fmac_f32_e32 v21, 0x3f5db3d7, v20
	v_fmac_f32_e32 v23, 0x3f5db3d7, v22
	v_add_u32_e32 v108, 0x1000, v24
	v_add3_u32 v4, 0, v4, v19
	v_add_f32_e32 v14, v14, v31
	ds_write2_b32 v108, v21, v23 offset0:110 offset1:191
	ds_write_b32 v4, v14
	ds_write_b32 v4, v18 offset:1080
	ds_write_b32 v4, v16 offset:2160
	v_sub_f32_e32 v14, v66, v68
	v_mov_b32_e32 v16, v15
	v_fmac_f32_e32 v15, 0xbf5db3d7, v14
	ds_write_b32 v71, v15 offset:8640
	v_add_f32_e32 v15, v92, v94
	v_fmac_f32_e32 v16, 0x3f5db3d7, v14
	v_add_f32_e32 v14, v13, v92
	v_fmac_f32_e32 v13, -0.5, v15
	v_add_f32_e32 v15, v69, v90
	v_fma_f32 v15, -0.5, v15, v12
	v_sub_f32_e32 v18, v70, v91
	v_mov_b32_e32 v19, v15
	v_fmac_f32_e32 v15, 0xbf5db3d7, v18
	ds_write_b32 v110, v15 offset:8640
	v_sub_f32_e32 v15, v93, v95
	v_mov_b32_e32 v20, v13
	v_fmac_f32_e32 v13, 0xbf5db3d7, v15
	v_add_f32_e32 v12, v12, v69
	ds_write_b32 v111, v13 offset:8640
	v_add_f32_e32 v13, v17, v67
	v_add_f32_e32 v12, v12, v90
	v_fmac_f32_e32 v19, 0x3f5db3d7, v18
	ds_write_b32 v71, v13 offset:6480
	ds_write_b32 v71, v16 offset:7560
	;; [unrolled: 1-line block ×4, first 2 shown]
	v_add_f32_e32 v12, v14, v94
	v_fmac_f32_e32 v20, 0x3f5db3d7, v15
	ds_write_b32 v111, v12 offset:6480
	ds_write_b32 v111, v20 offset:7560
	v_add_f32_e32 v12, v98, v100
	v_sub_f32_e32 v109, v112, v35
	v_fma_f32 v112, -0.5, v12, v36
	v_mov_b32_e32 v120, v112
	v_add_f32_e32 v12, v44, v102
	v_fmac_f32_e32 v120, 0xbf5db3d7, v109
	v_add_f32_e32 v121, v12, v104
	s_waitcnt lgkmcnt(0)
	s_barrier
	ds_read2_b32 v[12:13], v1 offset1:81
	ds_read2_b32 v[16:17], v72 offset0:42 offset1:123
	ds_read2_b32 v[14:15], v73 offset0:84 offset1:165
	;; [unrolled: 1-line block ×14, first 2 shown]
	s_waitcnt lgkmcnt(0)
	s_barrier
	ds_write2_b32 v96, v121, v120 offset0:34 offset1:142
	v_add_f32_e32 v96, v37, v99
	v_add_f32_e32 v99, v99, v101
	v_fmac_f32_e32 v37, -0.5, v99
	v_sub_f32_e32 v99, v113, v114
	v_fmac_f32_e32 v112, 0x3f5db3d7, v109
	v_mov_b32_e32 v109, v37
	v_fmac_f32_e32 v37, 0x3f5db3d7, v99
	v_add_f32_e32 v36, v36, v98
	ds_write2_b32 v38, v112, v37 offset0:28 offset1:109
	v_add_f32_e32 v36, v36, v100
	v_add_f32_e32 v37, v96, v101
	ds_write2_b32 v1, v36, v37 offset1:81
	v_add_f32_e32 v36, v102, v104
	v_fma_f32 v36, -0.5, v36, v44
	v_sub_f32_e32 v37, v115, v116
	v_mov_b32_e32 v44, v36
	v_fmac_f32_e32 v109, 0xbf5db3d7, v99
	v_fmac_f32_e32 v44, 0xbf5db3d7, v37
	ds_write2_b32 v76, v109, v44 offset0:95 offset1:176
	v_add_f32_e32 v44, v103, v105
	v_fmac_f32_e32 v36, 0x3f5db3d7, v37
	v_add_f32_e32 v37, v45, v103
	v_fmac_f32_e32 v45, -0.5, v44
	v_sub_f32_e32 v44, v117, v118
	ds_write_b32 v1, v36 offset:2808
	v_mov_b32_e32 v36, v45
	v_fmac_f32_e32 v45, 0x3f5db3d7, v44
	v_add_f32_e32 v37, v37, v105
	ds_write_b32 v30, v45 offset:2160
	v_fmac_f32_e32 v36, 0xbf5db3d7, v44
	ds_write_b32 v30, v37
	ds_write_b32 v30, v36 offset:1080
	v_add_f32_e32 v37, v60, v62
	v_add_f32_e32 v44, v56, v58
	v_sub_f32_e32 v30, v119, v106
	v_add_f32_e32 v36, v47, v60
	v_fmac_f32_e32 v47, -0.5, v37
	v_sub_f32_e32 v37, v57, v59
	v_fma_f32 v44, -0.5, v44, v46
	v_mov_b32_e32 v45, v44
	v_fmac_f32_e32 v44, 0x3f5db3d7, v30
	v_mov_b32_e32 v57, v47
	v_fmac_f32_e32 v47, 0x3f5db3d7, v37
	ds_write2_b32 v97, v44, v47 offset0:124 offset1:205
	v_add_f32_e32 v44, v46, v56
	v_add_f32_e32 v44, v44, v58
	;; [unrolled: 1-line block ×3, first 2 shown]
	ds_write2_b32 v107, v44, v36 offset0:96 offset1:177
	v_add_f32_e32 v36, v64, v63
	v_fma_f32 v36, -0.5, v36, v52
	v_fmac_f32_e32 v57, 0xbf5db3d7, v37
	v_sub_f32_e32 v31, v61, v31
	v_mov_b32_e32 v37, v36
	v_add_f32_e32 v44, v66, v68
	v_fmac_f32_e32 v45, 0xbf5db3d7, v30
	v_fmac_f32_e32 v37, 0xbf5db3d7, v31
	;; [unrolled: 1-line block ×3, first 2 shown]
	v_add_f32_e32 v31, v53, v66
	v_fmac_f32_e32 v53, -0.5, v44
	v_add_f32_e32 v46, v70, v91
	ds_write2_b32 v108, v45, v57 offset0:110 offset1:191
	v_sub_f32_e32 v44, v65, v67
	v_mov_b32_e32 v45, v53
	v_fma_f32 v46, -0.5, v46, v54
	v_add_f32_e32 v30, v52, v64
	v_fmac_f32_e32 v45, 0xbf5db3d7, v44
	v_fmac_f32_e32 v53, 0x3f5db3d7, v44
	v_add_f32_e32 v44, v54, v70
	v_sub_f32_e32 v47, v69, v90
	v_mov_b32_e32 v52, v46
	v_add_f32_e32 v54, v93, v95
	v_fmac_f32_e32 v52, 0xbf5db3d7, v47
	v_fmac_f32_e32 v46, 0x3f5db3d7, v47
	v_add_f32_e32 v47, v55, v93
	v_fmac_f32_e32 v55, -0.5, v54
	v_add_f32_e32 v30, v30, v63
	s_movk_i32 s0, 0x1000
	s_movk_i32 s1, 0x2000
	v_sub_f32_e32 v54, v92, v94
	v_mov_b32_e32 v56, v55
	v_add_f32_e32 v31, v31, v68
	v_add_f32_e32 v44, v44, v91
	;; [unrolled: 1-line block ×3, first 2 shown]
	v_fmac_f32_e32 v56, 0xbf5db3d7, v54
	v_fmac_f32_e32 v55, 0x3f5db3d7, v54
	ds_write_b32 v4, v30
	ds_write_b32 v4, v37 offset:1080
	ds_write_b32 v4, v36 offset:2160
	ds_write_b32 v71, v31 offset:6480
	ds_write_b32 v71, v45 offset:7560
	ds_write_b32 v71, v53 offset:8640
	ds_write_b32 v110, v44 offset:6480
	ds_write_b32 v110, v52 offset:7560
	ds_write_b32 v110, v46 offset:8640
	ds_write_b32 v111, v47 offset:6480
	ds_write_b32 v111, v56 offset:7560
	ds_write_b32 v111, v55 offset:8640
	s_waitcnt lgkmcnt(0)
	s_barrier
	s_and_saveexec_b64 s[4:5], vcc
	s_cbranch_execz .LBB0_13
; %bb.12:
	v_lshlrev_b32_e32 v4, 1, v85
	v_lshlrev_b64 v[30:31], 3, v[4:5]
	v_mov_b32_e32 v71, s9
	v_add_co_u32_e32 v4, vcc, s8, v30
	v_addc_co_u32_e32 v31, vcc, v71, v31, vcc
	v_add_co_u32_e32 v30, vcc, 0x1000, v4
	v_addc_co_u32_e32 v31, vcc, 0, v31, vcc
	v_lshlrev_b32_e32 v4, 1, v84
	global_load_dwordx4 v[44:47], v[30:31], off offset:2304
	v_lshlrev_b64 v[30:31], 3, v[4:5]
	s_movk_i32 s4, 0x654
	v_add_co_u32_e32 v4, vcc, s8, v30
	v_addc_co_u32_e32 v31, vcc, v71, v31, vcc
	v_add_co_u32_e32 v30, vcc, s0, v4
	v_addc_co_u32_e32 v31, vcc, 0, v31, vcc
	global_load_dwordx4 v[52:55], v[30:31], off offset:2304
	v_lshlrev_b32_e32 v4, 1, v39
	v_lshlrev_b64 v[30:31], 3, v[4:5]
	v_add_co_u32_e32 v4, vcc, s8, v30
	v_addc_co_u32_e32 v31, vcc, v71, v31, vcc
	v_add_co_u32_e32 v30, vcc, s0, v4
	v_addc_co_u32_e32 v31, vcc, 0, v31, vcc
	global_load_dwordx4 v[56:59], v[30:31], off offset:2304
	v_lshlrev_b32_e32 v4, 1, v83
	v_lshlrev_b64 v[60:61], 3, v[4:5]
	ds_read2_b32 v[30:31], v86 offset0:50 offset1:131
	ds_read2_b32 v[36:37], v87 offset0:92 offset1:173
	ds_read2_b32 v[38:39], v38 offset0:136 offset1:217
	v_add_co_u32_e32 v4, vcc, s8, v60
	v_addc_co_u32_e32 v61, vcc, v71, v61, vcc
	v_add_co_u32_e32 v60, vcc, s0, v4
	v_addc_co_u32_e32 v61, vcc, 0, v61, vcc
	global_load_dwordx4 v[60:63], v[60:61], off offset:2304
	ds_read2_b32 v[68:69], v79 offset0:102 offset1:183
	s_waitcnt vmcnt(3) lgkmcnt(3)
	v_mul_f32_e32 v4, v45, v31
	s_waitcnt lgkmcnt(2)
	v_mul_f32_e32 v64, v47, v37
	v_mul_f32_e32 v31, v44, v31
	;; [unrolled: 1-line block ×3, first 2 shown]
	v_fmac_f32_e32 v31, v27, v45
	v_fmac_f32_e32 v37, v29, v47
	v_fma_f32 v4, v27, v44, -v4
	v_fma_f32 v44, v29, v46, -v64
	v_sub_f32_e32 v45, v4, v44
	s_waitcnt lgkmcnt(1)
	v_add_f32_e32 v27, v31, v39
	s_waitcnt vmcnt(2)
	v_mul_f32_e32 v65, v53, v30
	v_mul_f32_e32 v30, v52, v30
	;; [unrolled: 1-line block ×4, first 2 shown]
	v_fma_f32 v46, v26, v52, -v65
	v_fmac_f32_e32 v30, v26, v53
	v_add_f32_e32 v26, v31, v37
	v_fma_f32 v47, v28, v54, -v66
	v_fmac_f32_e32 v36, v28, v55
	v_add_f32_e32 v28, v4, v44
	v_add_f32_e32 v4, v41, v4
	v_fma_f32 v29, -0.5, v26, v39
	v_sub_f32_e32 v52, v31, v37
	v_add_f32_e32 v54, v30, v36
	v_add_f32_e32 v55, v30, v38
	v_sub_f32_e32 v66, v30, v36
	v_add_f32_e32 v31, v37, v27
	v_add_f32_e32 v30, v4, v44
	v_mov_b32_e32 v27, v29
	v_lshlrev_b32_e32 v4, 1, v82
	v_fmac_f32_e32 v29, 0xbf5db3d7, v45
	v_fmac_f32_e32 v27, 0x3f5db3d7, v45
	v_lshlrev_b64 v[44:45], 3, v[4:5]
	v_add_f32_e32 v64, v46, v47
	v_fma_f32 v39, -0.5, v54, v38
	v_fma_f32 v38, -0.5, v64, v40
	v_add_co_u32_e32 v4, vcc, s8, v44
	v_fma_f32 v28, -0.5, v28, v41
	v_add_f32_e32 v41, v36, v55
	v_mov_b32_e32 v36, v38
	v_addc_co_u32_e32 v45, vcc, v71, v45, vcc
	ds_read2_b32 v[64:65], v80 offset0:16 offset1:97
	v_add_co_u32_e32 v44, vcc, s0, v4
	v_fmac_f32_e32 v36, 0xbf5db3d7, v66
	v_fmac_f32_e32 v38, 0x3f5db3d7, v66
	ds_read2_b32 v[66:67], v81 offset0:58 offset1:139
	v_sub_f32_e32 v53, v46, v47
	v_mov_b32_e32 v26, v28
	v_mov_b32_e32 v37, v39
	v_addc_co_u32_e32 v45, vcc, 0, v45, vcc
	v_fmac_f32_e32 v28, 0x3f5db3d7, v52
	v_fmac_f32_e32 v39, 0xbf5db3d7, v53
	v_fmac_f32_e32 v26, 0xbf5db3d7, v52
	v_fmac_f32_e32 v37, 0x3f5db3d7, v53
	global_load_dwordx4 v[52:55], v[44:45], off offset:2304
	v_add_f32_e32 v4, v40, v46
	v_add_f32_e32 v40, v4, v47
	s_waitcnt vmcnt(2) lgkmcnt(1)
	v_mul_f32_e32 v4, v57, v65
	v_mul_f32_e32 v65, v56, v65
	v_fma_f32 v80, v51, v56, -v4
	v_fmac_f32_e32 v65, v51, v57
	s_waitcnt lgkmcnt(0)
	v_mul_f32_e32 v51, v58, v67
	v_mul_f32_e32 v4, v59, v67
	v_fmac_f32_e32 v51, v49, v59
	v_fma_f32 v81, v49, v58, -v4
	v_add_f32_e32 v4, v65, v51
	v_fma_f32 v47, -0.5, v4, v69
	v_lshlrev_b32_e32 v4, 1, v89
	v_lshlrev_b64 v[56:57], 3, v[4:5]
	v_add_co_u32_e32 v4, vcc, s8, v56
	v_addc_co_u32_e32 v46, vcc, v71, v57, vcc
	v_add_co_u32_e32 v56, vcc, s0, v4
	v_addc_co_u32_e32 v57, vcc, 0, v46, vcc
	global_load_dwordx4 v[56:59], v[56:57], off offset:2304
	v_add_f32_e32 v4, v65, v69
	v_add_f32_e32 v70, v51, v4
	;; [unrolled: 1-line block ×3, first 2 shown]
	v_sub_f32_e32 v44, v80, v81
	v_mov_b32_e32 v45, v47
	v_fma_f32 v46, -0.5, v4, v43
	v_fmac_f32_e32 v45, 0x3f5db3d7, v44
	v_fmac_f32_e32 v47, 0xbf5db3d7, v44
	v_sub_f32_e32 v4, v65, v51
	v_mov_b32_e32 v44, v46
	v_fmac_f32_e32 v44, 0xbf5db3d7, v4
	v_fmac_f32_e32 v46, 0x3f5db3d7, v4
	v_add_f32_e32 v4, v43, v80
	v_add_f32_e32 v69, v4, v81
	s_waitcnt vmcnt(2)
	v_mul_f32_e32 v4, v61, v64
	v_fma_f32 v81, v50, v60, -v4
	v_mul_f32_e32 v60, v60, v64
	v_fmac_f32_e32 v60, v50, v61
	v_mul_f32_e32 v61, v62, v66
	v_mul_f32_e32 v4, v63, v66
	v_fmac_f32_e32 v61, v48, v63
	v_fma_f32 v86, v48, v62, -v4
	v_add_f32_e32 v4, v60, v61
	v_fma_f32 v65, -0.5, v4, v68
	v_lshlrev_b32_e32 v4, 1, v88
	v_lshlrev_b64 v[48:49], 3, v[4:5]
	ds_read2_b32 v[79:80], v77 offset0:110 offset1:191
	v_add_co_u32_e32 v4, vcc, s8, v48
	v_addc_co_u32_e32 v49, vcc, v71, v49, vcc
	v_add_co_u32_e32 v48, vcc, s0, v4
	v_addc_co_u32_e32 v49, vcc, 0, v49, vcc
	ds_read2_b32 v[77:78], v78 offset0:152 offset1:233
	v_sub_f32_e32 v43, v81, v86
	v_mov_b32_e32 v67, v65
	global_load_dwordx4 v[48:51], v[48:49], off offset:2304
	v_add_f32_e32 v4, v60, v68
	v_fmac_f32_e32 v67, 0x3f5db3d7, v43
	v_fmac_f32_e32 v65, 0xbf5db3d7, v43
	v_add_f32_e32 v43, v61, v4
	v_add_f32_e32 v4, v81, v86
	v_fma_f32 v64, -0.5, v4, v42
	v_sub_f32_e32 v4, v60, v61
	v_mov_b32_e32 v66, v64
	v_add_co_u32_e32 v10, vcc, s0, v10
	v_fmac_f32_e32 v66, 0xbf5db3d7, v4
	v_fmac_f32_e32 v64, 0x3f5db3d7, v4
	v_add_f32_e32 v4, v42, v81
	v_addc_co_u32_e32 v11, vcc, 0, v11, vcc
	v_add_f32_e32 v42, v4, v86
	s_waitcnt vmcnt(2) lgkmcnt(0)
	v_mul_f32_e32 v60, v55, v78
	v_fma_f32 v68, v33, v54, -v60
	global_load_dwordx4 v[60:63], v[10:11], off offset:2304
	ds_read2_b32 v[86:87], v76 offset0:68 offset1:149
	v_mul_f32_e32 v76, v52, v80
	v_mul_f32_e32 v10, v54, v78
	v_fmac_f32_e32 v76, v35, v53
	v_fmac_f32_e32 v10, v33, v55
	v_mul_f32_e32 v4, v53, v80
	v_add_f32_e32 v11, v76, v10
	v_fma_f32 v4, v35, v52, -v4
	s_waitcnt lgkmcnt(0)
	v_fma_f32 v53, -0.5, v11, v87
	v_add_f32_e32 v11, v76, v87
	v_add_f32_e32 v81, v10, v11
	;; [unrolled: 1-line block ×3, first 2 shown]
	v_fma_f32 v52, -0.5, v11, v25
	v_add_co_u32_e32 v8, vcc, s0, v8
	v_sub_f32_e32 v10, v76, v10
	v_mov_b32_e32 v54, v52
	v_addc_co_u32_e32 v9, vcc, 0, v9, vcc
	v_fmac_f32_e32 v54, 0xbf5db3d7, v10
	v_fmac_f32_e32 v52, 0x3f5db3d7, v10
	global_load_dwordx4 v[8:11], v[8:9], off offset:2304
	v_sub_f32_e32 v71, v4, v68
	v_add_f32_e32 v4, v25, v4
	v_add_f32_e32 v80, v4, v68
	s_waitcnt vmcnt(3)
	v_mul_f32_e32 v4, v57, v79
	v_mul_f32_e32 v33, v56, v79
	v_fma_f32 v4, v34, v56, -v4
	v_fmac_f32_e32 v33, v34, v57
	v_mul_f32_e32 v34, v58, v77
	v_mul_f32_e32 v25, v59, v77
	v_fmac_f32_e32 v34, v32, v59
	v_fma_f32 v68, v32, v58, -v25
	v_add_f32_e32 v32, v33, v34
	v_fma_f32 v57, -0.5, v32, v86
	v_add_f32_e32 v32, v4, v68
	v_sub_f32_e32 v25, v4, v68
	v_mov_b32_e32 v59, v57
	v_fma_f32 v56, -0.5, v32, v24
	v_add_co_u32_e32 v6, vcc, s0, v6
	v_fmac_f32_e32 v59, 0x3f5db3d7, v25
	v_fmac_f32_e32 v57, 0xbf5db3d7, v25
	v_add_f32_e32 v25, v33, v86
	v_sub_f32_e32 v32, v33, v34
	v_mov_b32_e32 v58, v56
	v_addc_co_u32_e32 v7, vcc, 0, v7, vcc
	v_add_f32_e32 v25, v34, v25
	v_fmac_f32_e32 v58, 0xbf5db3d7, v32
	v_fmac_f32_e32 v56, 0x3f5db3d7, v32
	global_load_dwordx4 v[32:35], v[6:7], off offset:2304
	ds_read2_b32 v[75:76], v75 offset0:76 offset1:157
	ds_read2_b32 v[6:7], v74 offset0:118 offset1:199
	;; [unrolled: 1-line block ×3, first 2 shown]
	v_add_f32_e32 v4, v24, v4
	v_add_f32_e32 v24, v4, v68
	v_mov_b32_e32 v55, v53
	v_fmac_f32_e32 v55, 0x3f5db3d7, v71
	v_fmac_f32_e32 v53, 0xbf5db3d7, v71
	s_waitcnt vmcnt(3) lgkmcnt(1)
	v_mul_f32_e32 v68, v51, v7
	v_mul_f32_e32 v74, v48, v76
	;; [unrolled: 1-line block ×3, first 2 shown]
	v_fmac_f32_e32 v74, v23, v49
	v_fmac_f32_e32 v7, v21, v51
	v_mul_f32_e32 v4, v49, v76
	v_fma_f32 v68, v21, v50, -v68
	v_add_f32_e32 v21, v74, v7
	v_fma_f32 v4, v23, v48, -v4
	s_waitcnt lgkmcnt(0)
	v_fma_f32 v49, -0.5, v21, v78
	v_add_f32_e32 v21, v74, v78
	v_sub_f32_e32 v71, v4, v68
	v_add_f32_e32 v79, v7, v21
	v_add_f32_e32 v21, v4, v68
	;; [unrolled: 1-line block ×4, first 2 shown]
	v_fma_f32 v48, -0.5, v21, v19
	v_sub_f32_e32 v7, v74, v7
	v_mov_b32_e32 v50, v48
	s_waitcnt vmcnt(2)
	v_mul_f32_e32 v4, v61, v75
	v_fma_f32 v4, v22, v60, -v4
	v_mul_f32_e32 v23, v60, v75
	v_mul_f32_e32 v60, v62, v6
	v_fmac_f32_e32 v23, v22, v61
	v_fmac_f32_e32 v60, v20, v63
	;; [unrolled: 1-line block ×4, first 2 shown]
	v_mul_f32_e32 v7, v63, v6
	v_add_f32_e32 v6, v23, v60
	v_fma_f32 v21, v20, v62, -v7
	v_fma_f32 v7, -0.5, v6, v77
	v_add_f32_e32 v6, v23, v77
	ds_read2_b32 v[62:63], v73 offset0:84 offset1:165
	v_add_f32_e32 v22, v60, v6
	v_sub_f32_e32 v23, v23, v60
	ds_read2_b32 v[60:61], v72 offset0:42 offset1:123
	v_mov_b32_e32 v51, v49
	v_add_f32_e32 v6, v4, v21
	v_fmac_f32_e32 v51, 0x3f5db3d7, v71
	v_fmac_f32_e32 v49, 0xbf5db3d7, v71
	v_sub_f32_e32 v19, v4, v21
	v_mov_b32_e32 v20, v7
	v_fma_f32 v6, -0.5, v6, v18
	ds_read2_b32 v[71:72], v1 offset1:81
	v_fmac_f32_e32 v20, 0x3f5db3d7, v19
	v_fmac_f32_e32 v7, 0xbf5db3d7, v19
	v_mov_b32_e32 v19, v6
	v_add_f32_e32 v4, v18, v4
	s_waitcnt vmcnt(1) lgkmcnt(2)
	v_mul_f32_e32 v18, v11, v63
	v_fmac_f32_e32 v19, 0xbf5db3d7, v23
	v_fmac_f32_e32 v6, 0x3f5db3d7, v23
	v_fma_f32 v23, v15, v10, -v18
	s_waitcnt lgkmcnt(1)
	v_mul_f32_e32 v1, v8, v61
	v_mul_f32_e32 v10, v10, v63
	v_add_f32_e32 v21, v4, v21
	v_mul_f32_e32 v4, v9, v61
	v_fmac_f32_e32 v1, v17, v9
	v_fmac_f32_e32 v10, v15, v11
	v_fma_f32 v4, v17, v8, -v4
	v_add_f32_e32 v8, v1, v10
	s_waitcnt lgkmcnt(0)
	v_fma_f32 v9, -0.5, v8, v72
	v_sub_f32_e32 v18, v4, v23
	v_mov_b32_e32 v11, v9
	v_add_f32_e32 v8, v1, v72
	v_fmac_f32_e32 v11, 0x3f5db3d7, v18
	v_fmac_f32_e32 v9, 0xbf5db3d7, v18
	v_add_f32_e32 v18, v10, v8
	v_add_f32_e32 v8, v4, v23
	v_fma_f32 v8, -0.5, v8, v13
	v_sub_f32_e32 v1, v1, v10
	v_mov_b32_e32 v10, v8
	v_fmac_f32_e32 v10, 0xbf5db3d7, v1
	v_fmac_f32_e32 v8, 0x3f5db3d7, v1
	v_add_f32_e32 v1, v13, v4
	v_add_f32_e32 v17, v1, v23
	s_waitcnt vmcnt(0)
	v_mul_f32_e32 v15, v32, v60
	v_mul_f32_e32 v23, v34, v62
	;; [unrolled: 1-line block ×3, first 2 shown]
	v_fmac_f32_e32 v15, v16, v33
	v_fmac_f32_e32 v23, v14, v35
	v_mul_f32_e32 v1, v33, v60
	v_fma_f32 v4, v14, v34, -v4
	v_add_f32_e32 v14, v15, v23
	v_fma_f32 v1, v16, v32, -v1
	v_fma_f32 v14, -0.5, v14, v71
	v_sub_f32_e32 v13, v1, v4
	v_mov_b32_e32 v16, v14
	v_fmac_f32_e32 v16, 0x3f5db3d7, v13
	v_fmac_f32_e32 v14, 0xbf5db3d7, v13
	v_add_f32_e32 v13, v15, v71
	v_add_f32_e32 v33, v23, v13
	;; [unrolled: 1-line block ×3, first 2 shown]
	v_fma_f32 v13, -0.5, v13, v12
	v_add_f32_e32 v1, v12, v1
	v_sub_f32_e32 v23, v15, v23
	v_mov_b32_e32 v15, v13
	v_add_f32_e32 v32, v1, v4
	v_mov_b32_e32 v1, v5
	v_fmac_f32_e32 v15, 0xbf5db3d7, v23
	v_fmac_f32_e32 v13, 0x3f5db3d7, v23
	v_mov_b32_e32 v4, s3
	v_add_co_u32_e32 v23, vcc, s2, v2
	v_lshlrev_b64 v[0:1], 3, v[0:1]
	v_addc_co_u32_e32 v34, vcc, v4, v3, vcc
	s_mov_b32 s3, 0x50e89cc3
	v_add_co_u32_e32 v0, vcc, v23, v0
	v_mul_hi_u32 v4, v82, s3
	v_addc_co_u32_e32 v1, vcc, v34, v1, vcc
	v_add_co_u32_e32 v2, vcc, s0, v0
	v_addc_co_u32_e32 v3, vcc, 0, v1, vcc
	s_movk_i32 s2, 0x3000
	v_add_co_u32_e32 v12, vcc, s2, v0
	v_lshrrev_b32_e32 v4, 8, v4
	global_store_dwordx2 v[2:3], v[13:14], off offset:2384
	v_addc_co_u32_e32 v13, vcc, 0, v1, vcc
	v_mul_u32_u24_e32 v4, 0x654, v4
	global_store_dwordx2 v[0:1], v[32:33], off
	global_store_dwordx2 v[12:13], v[15:16], off offset:672
	global_store_dwordx2 v[0:1], v[17:18], off offset:648
	;; [unrolled: 1-line block ×8, first 2 shown]
	v_add_co_u32_e32 v6, vcc, s1, v0
	v_lshlrev_b64 v[8:9], 3, v[4:5]
	v_addc_co_u32_e32 v7, vcc, 0, v1, vcc
	v_add_co_u32_e32 v8, vcc, v0, v8
	v_mul_hi_u32 v4, v83, s3
	v_addc_co_u32_e32 v9, vcc, v1, v9, vcc
	v_add_co_u32_e32 v10, vcc, s1, v8
	v_addc_co_u32_e32 v11, vcc, 0, v9, vcc
	global_store_dwordx2 v[6:7], v[48:49], off offset:232
	global_store_dwordx2 v[12:13], v[50:51], off offset:2616
	;; [unrolled: 1-line block ×6, first 2 shown]
	v_add_co_u32_e32 v8, vcc, s2, v8
	v_lshrrev_b32_e32 v4, 8, v4
	v_addc_co_u32_e32 v9, vcc, 0, v9, vcc
	v_mul_u32_u24_e32 v4, 0x654, v4
	global_store_dwordx2 v[8:9], v[54:55], off offset:3912
	v_lshlrev_b64 v[8:9], 3, v[4:5]
	global_store_dwordx2 v[10:11], v[52:53], off offset:1528
	v_add_co_u32_e32 v8, vcc, v0, v8
	v_addc_co_u32_e32 v9, vcc, v1, v9, vcc
	v_add_co_u32_e32 v10, vcc, s1, v8
	v_addc_co_u32_e32 v11, vcc, 0, v9, vcc
	s_movk_i32 s1, 0x4000
	global_store_dwordx2 v[8:9], v[42:43], off offset:3888
	v_add_co_u32_e32 v8, vcc, s1, v8
	v_addc_co_u32_e32 v9, vcc, 0, v9, vcc
	global_store_dwordx2 v[10:11], v[64:65], off offset:2176
	global_store_dwordx2 v[8:9], v[66:67], off offset:464
	;; [unrolled: 1-line block ×4, first 2 shown]
	v_mul_hi_u32 v2, v84, s3
	v_add_co_u32_e32 v0, vcc, s1, v0
	v_addc_co_u32_e32 v1, vcc, 0, v1, vcc
	global_store_dwordx2 v[0:1], v[44:45], off offset:1112
	v_lshrrev_b32_e32 v0, 8, v2
	v_mad_u32_u24 v4, v0, s4, v84
	v_lshlrev_b64 v[0:1], 3, v[4:5]
	v_add_co_u32_e32 v0, vcc, v23, v0
	v_addc_co_u32_e32 v1, vcc, v34, v1, vcc
	v_add_co_u32_e32 v2, vcc, s0, v0
	v_addc_co_u32_e32 v3, vcc, 0, v1, vcc
	global_store_dwordx2 v[2:3], v[38:39], off offset:2384
	v_mul_hi_u32 v2, v85, s3
	global_store_dwordx2 v[0:1], v[40:41], off
	v_add_co_u32_e32 v0, vcc, s2, v0
	v_addc_co_u32_e32 v1, vcc, 0, v1, vcc
	global_store_dwordx2 v[0:1], v[36:37], off offset:672
	v_lshrrev_b32_e32 v0, 8, v2
	v_mad_u32_u24 v4, v0, s4, v85
	v_lshlrev_b64 v[0:1], 3, v[4:5]
	v_add_co_u32_e32 v0, vcc, v23, v0
	v_addc_co_u32_e32 v1, vcc, v34, v1, vcc
	v_add_co_u32_e32 v2, vcc, 0x1000, v0
	v_addc_co_u32_e32 v3, vcc, 0, v1, vcc
	global_store_dwordx2 v[0:1], v[30:31], off
	v_add_co_u32_e32 v0, vcc, 0x3000, v0
	v_addc_co_u32_e32 v1, vcc, 0, v1, vcc
	global_store_dwordx2 v[2:3], v[28:29], off offset:2384
	global_store_dwordx2 v[0:1], v[26:27], off offset:672
.LBB0_13:
	s_endpgm
	.section	.rodata,"a",@progbits
	.p2align	6, 0x0
	.amdhsa_kernel fft_rtc_fwd_len2430_factors_10_3_3_3_3_3_wgs_81_tpt_81_halfLds_sp_ip_CI_unitstride_sbrr_dirReg
		.amdhsa_group_segment_fixed_size 0
		.amdhsa_private_segment_fixed_size 0
		.amdhsa_kernarg_size 88
		.amdhsa_user_sgpr_count 6
		.amdhsa_user_sgpr_private_segment_buffer 1
		.amdhsa_user_sgpr_dispatch_ptr 0
		.amdhsa_user_sgpr_queue_ptr 0
		.amdhsa_user_sgpr_kernarg_segment_ptr 1
		.amdhsa_user_sgpr_dispatch_id 0
		.amdhsa_user_sgpr_flat_scratch_init 0
		.amdhsa_user_sgpr_private_segment_size 0
		.amdhsa_uses_dynamic_stack 0
		.amdhsa_system_sgpr_private_segment_wavefront_offset 0
		.amdhsa_system_sgpr_workgroup_id_x 1
		.amdhsa_system_sgpr_workgroup_id_y 0
		.amdhsa_system_sgpr_workgroup_id_z 0
		.amdhsa_system_sgpr_workgroup_info 0
		.amdhsa_system_vgpr_workitem_id 0
		.amdhsa_next_free_vgpr 130
		.amdhsa_next_free_sgpr 22
		.amdhsa_reserve_vcc 1
		.amdhsa_reserve_flat_scratch 0
		.amdhsa_float_round_mode_32 0
		.amdhsa_float_round_mode_16_64 0
		.amdhsa_float_denorm_mode_32 3
		.amdhsa_float_denorm_mode_16_64 3
		.amdhsa_dx10_clamp 1
		.amdhsa_ieee_mode 1
		.amdhsa_fp16_overflow 0
		.amdhsa_exception_fp_ieee_invalid_op 0
		.amdhsa_exception_fp_denorm_src 0
		.amdhsa_exception_fp_ieee_div_zero 0
		.amdhsa_exception_fp_ieee_overflow 0
		.amdhsa_exception_fp_ieee_underflow 0
		.amdhsa_exception_fp_ieee_inexact 0
		.amdhsa_exception_int_div_zero 0
	.end_amdhsa_kernel
	.text
.Lfunc_end0:
	.size	fft_rtc_fwd_len2430_factors_10_3_3_3_3_3_wgs_81_tpt_81_halfLds_sp_ip_CI_unitstride_sbrr_dirReg, .Lfunc_end0-fft_rtc_fwd_len2430_factors_10_3_3_3_3_3_wgs_81_tpt_81_halfLds_sp_ip_CI_unitstride_sbrr_dirReg
                                        ; -- End function
	.section	.AMDGPU.csdata,"",@progbits
; Kernel info:
; codeLenInByte = 16940
; NumSgprs: 26
; NumVgprs: 130
; ScratchSize: 0
; MemoryBound: 0
; FloatMode: 240
; IeeeMode: 1
; LDSByteSize: 0 bytes/workgroup (compile time only)
; SGPRBlocks: 3
; VGPRBlocks: 32
; NumSGPRsForWavesPerEU: 26
; NumVGPRsForWavesPerEU: 130
; Occupancy: 1
; WaveLimiterHint : 1
; COMPUTE_PGM_RSRC2:SCRATCH_EN: 0
; COMPUTE_PGM_RSRC2:USER_SGPR: 6
; COMPUTE_PGM_RSRC2:TRAP_HANDLER: 0
; COMPUTE_PGM_RSRC2:TGID_X_EN: 1
; COMPUTE_PGM_RSRC2:TGID_Y_EN: 0
; COMPUTE_PGM_RSRC2:TGID_Z_EN: 0
; COMPUTE_PGM_RSRC2:TIDIG_COMP_CNT: 0
	.type	__hip_cuid_2608c1691668bb46,@object ; @__hip_cuid_2608c1691668bb46
	.section	.bss,"aw",@nobits
	.globl	__hip_cuid_2608c1691668bb46
__hip_cuid_2608c1691668bb46:
	.byte	0                               ; 0x0
	.size	__hip_cuid_2608c1691668bb46, 1

	.ident	"AMD clang version 19.0.0git (https://github.com/RadeonOpenCompute/llvm-project roc-6.4.0 25133 c7fe45cf4b819c5991fe208aaa96edf142730f1d)"
	.section	".note.GNU-stack","",@progbits
	.addrsig
	.addrsig_sym __hip_cuid_2608c1691668bb46
	.amdgpu_metadata
---
amdhsa.kernels:
  - .args:
      - .actual_access:  read_only
        .address_space:  global
        .offset:         0
        .size:           8
        .value_kind:     global_buffer
      - .offset:         8
        .size:           8
        .value_kind:     by_value
      - .actual_access:  read_only
        .address_space:  global
        .offset:         16
        .size:           8
        .value_kind:     global_buffer
      - .actual_access:  read_only
        .address_space:  global
        .offset:         24
        .size:           8
        .value_kind:     global_buffer
      - .offset:         32
        .size:           8
        .value_kind:     by_value
      - .actual_access:  read_only
        .address_space:  global
        .offset:         40
        .size:           8
        .value_kind:     global_buffer
      - .actual_access:  read_only
        .address_space:  global
        .offset:         48
        .size:           8
        .value_kind:     global_buffer
      - .offset:         56
        .size:           4
        .value_kind:     by_value
      - .actual_access:  read_only
        .address_space:  global
        .offset:         64
        .size:           8
        .value_kind:     global_buffer
      - .actual_access:  read_only
        .address_space:  global
        .offset:         72
        .size:           8
        .value_kind:     global_buffer
      - .address_space:  global
        .offset:         80
        .size:           8
        .value_kind:     global_buffer
    .group_segment_fixed_size: 0
    .kernarg_segment_align: 8
    .kernarg_segment_size: 88
    .language:       OpenCL C
    .language_version:
      - 2
      - 0
    .max_flat_workgroup_size: 81
    .name:           fft_rtc_fwd_len2430_factors_10_3_3_3_3_3_wgs_81_tpt_81_halfLds_sp_ip_CI_unitstride_sbrr_dirReg
    .private_segment_fixed_size: 0
    .sgpr_count:     26
    .sgpr_spill_count: 0
    .symbol:         fft_rtc_fwd_len2430_factors_10_3_3_3_3_3_wgs_81_tpt_81_halfLds_sp_ip_CI_unitstride_sbrr_dirReg.kd
    .uniform_work_group_size: 1
    .uses_dynamic_stack: false
    .vgpr_count:     130
    .vgpr_spill_count: 0
    .wavefront_size: 64
amdhsa.target:   amdgcn-amd-amdhsa--gfx906
amdhsa.version:
  - 1
  - 2
...

	.end_amdgpu_metadata
